;; amdgpu-corpus repo=ROCm/rocFFT kind=compiled arch=gfx906 opt=O3
	.text
	.amdgcn_target "amdgcn-amd-amdhsa--gfx906"
	.amdhsa_code_object_version 6
	.protected	bluestein_single_fwd_len1190_dim1_half_op_CI_CI ; -- Begin function bluestein_single_fwd_len1190_dim1_half_op_CI_CI
	.globl	bluestein_single_fwd_len1190_dim1_half_op_CI_CI
	.p2align	8
	.type	bluestein_single_fwd_len1190_dim1_half_op_CI_CI,@function
bluestein_single_fwd_len1190_dim1_half_op_CI_CI: ; @bluestein_single_fwd_len1190_dim1_half_op_CI_CI
; %bb.0:
	v_mul_u32_u24_e32 v1, 0x304, v0
	s_load_dwordx4 s[0:3], s[4:5], 0x28
	v_lshrrev_b32_e32 v1, 16, v1
	v_mad_u64_u32 v[20:21], s[6:7], s6, 3, v[1:2]
	v_mov_b32_e32 v21, 0
	s_waitcnt lgkmcnt(0)
	v_cmp_gt_u64_e32 vcc, s[0:1], v[20:21]
	s_and_saveexec_b64 s[0:1], vcc
	s_cbranch_execz .LBB0_23
; %bb.1:
	s_mov_b32 s0, 0xaaaaaaab
	v_mul_hi_u32 v2, v20, s0
	v_mul_lo_u16_e32 v1, 0x55, v1
	s_load_dwordx2 s[6:7], s[4:5], 0x0
	s_load_dwordx2 s[12:13], s[4:5], 0x38
	v_sub_u16_e32 v42, v0, v1
	v_lshrrev_b32_e32 v0, 1, v2
	v_lshl_add_u32 v0, v0, 1, v0
	v_sub_u32_e32 v0, v20, v0
	v_mul_u32_u24_e32 v29, 0x4a6, v0
	s_movk_i32 s0, 0x46
	v_cmp_gt_u16_e64 s[0:1], s0, v42
	v_lshlrev_b32_e32 v41, 2, v42
	v_lshlrev_b32_e32 v44, 2, v29
	s_and_saveexec_b64 s[8:9], s[0:1]
	s_cbranch_execz .LBB0_3
; %bb.2:
	s_load_dwordx2 s[10:11], s[4:5], 0x18
	s_waitcnt lgkmcnt(0)
	v_mov_b32_e32 v12, s7
	v_lshl_add_u32 v13, v42, 2, v44
	v_add_u32_e32 v14, v44, v41
	s_load_dwordx4 s[16:19], s[10:11], 0x0
	s_waitcnt lgkmcnt(0)
	v_mad_u64_u32 v[0:1], s[10:11], s18, v20, 0
	v_mad_u64_u32 v[2:3], s[10:11], s16, v42, 0
	;; [unrolled: 1-line block ×4, first 2 shown]
	v_mov_b32_e32 v1, v4
	v_lshlrev_b64 v[0:1], 2, v[0:1]
	v_mov_b32_e32 v3, v5
	v_mov_b32_e32 v6, s3
	v_lshlrev_b64 v[2:3], 2, v[2:3]
	v_add_co_u32_e32 v0, vcc, s2, v0
	v_addc_co_u32_e32 v1, vcc, v6, v1, vcc
	v_add_co_u32_e32 v0, vcc, v0, v2
	s_mul_i32 s2, s17, 0x118
	s_mul_hi_u32 s3, s16, 0x118
	v_addc_co_u32_e32 v1, vcc, v1, v3, vcc
	s_add_i32 s2, s3, s2
	s_mul_i32 s3, s16, 0x118
	v_mov_b32_e32 v3, s2
	v_add_co_u32_e32 v2, vcc, s3, v0
	v_addc_co_u32_e32 v3, vcc, v1, v3, vcc
	global_load_dword v4, v[0:1], off
	global_load_dword v5, v[2:3], off
	global_load_dword v6, v41, s[6:7]
	global_load_dword v7, v41, s[6:7] offset:280
	v_mov_b32_e32 v1, s2
	v_add_co_u32_e32 v0, vcc, s3, v2
	v_addc_co_u32_e32 v1, vcc, v3, v1, vcc
	global_load_dword v2, v[0:1], off
	global_load_dword v3, v41, s[6:7] offset:560
	v_mov_b32_e32 v8, s2
	v_add_co_u32_e32 v0, vcc, s3, v0
	v_addc_co_u32_e32 v1, vcc, v1, v8, vcc
	global_load_dword v8, v[0:1], off
	;; [unrolled: 5-line block ×3, first 2 shown]
	global_load_dword v11, v41, s[6:7] offset:1120
	v_add_co_u32_e32 v18, vcc, s6, v41
	v_addc_co_u32_e32 v12, vcc, 0, v12, vcc
	v_mov_b32_e32 v19, s2
	v_add_co_u32_e32 v0, vcc, s3, v0
	v_addc_co_u32_e32 v1, vcc, v1, v19, vcc
	global_load_dword v15, v41, s[6:7] offset:1400
	global_load_dword v16, v41, s[6:7] offset:1680
	;; [unrolled: 1-line block ×3, first 2 shown]
	v_mov_b32_e32 v21, s2
	global_load_dword v19, v[0:1], off
	v_add_co_u32_e32 v0, vcc, s3, v0
	v_addc_co_u32_e32 v1, vcc, v1, v21, vcc
	s_movk_i32 s10, 0x1000
	s_waitcnt vmcnt(13)
	v_lshrrev_b32_e32 v21, 16, v4
	s_waitcnt vmcnt(11)
	v_mul_f16_sdwa v22, v6, v4 dst_sel:DWORD dst_unused:UNUSED_PAD src0_sel:WORD_1 src1_sel:DWORD
	v_mul_f16_sdwa v23, v6, v21 dst_sel:DWORD dst_unused:UNUSED_PAD src0_sel:WORD_1 src1_sel:DWORD
	v_fma_f16 v21, v6, v21, -v22
	v_lshrrev_b32_e32 v22, 16, v5
	s_waitcnt vmcnt(10)
	v_mul_f16_sdwa v24, v7, v5 dst_sel:DWORD dst_unused:UNUSED_PAD src0_sel:WORD_1 src1_sel:DWORD
	v_fma_f16 v4, v6, v4, v23
	v_mul_f16_sdwa v6, v7, v22 dst_sel:DWORD dst_unused:UNUSED_PAD src0_sel:WORD_1 src1_sel:DWORD
	s_waitcnt vmcnt(9)
	v_lshrrev_b32_e32 v23, 16, v2
	v_fma_f16 v22, v7, v22, -v24
	s_waitcnt vmcnt(8)
	v_mul_f16_sdwa v24, v3, v2 dst_sel:DWORD dst_unused:UNUSED_PAD src0_sel:WORD_1 src1_sel:DWORD
	v_pack_b32_f16 v4, v4, v21
	v_fma_f16 v5, v7, v5, v6
	v_mul_f16_sdwa v6, v3, v23 dst_sel:DWORD dst_unused:UNUSED_PAD src0_sel:WORD_1 src1_sel:DWORD
	s_waitcnt vmcnt(7)
	v_lshrrev_b32_e32 v21, 16, v8
	v_fma_f16 v7, v3, v23, -v24
	s_waitcnt vmcnt(6)
	v_mul_f16_sdwa v23, v9, v8 dst_sel:DWORD dst_unused:UNUSED_PAD src0_sel:WORD_1 src1_sel:DWORD
	v_fma_f16 v2, v3, v2, v6
	v_mul_f16_sdwa v3, v9, v21 dst_sel:DWORD dst_unused:UNUSED_PAD src0_sel:WORD_1 src1_sel:DWORD
	s_waitcnt vmcnt(5)
	v_lshrrev_b32_e32 v6, 16, v10
	ds_write_b32 v13, v4
	v_pack_b32_f16 v4, v5, v22
	v_fma_f16 v5, v9, v21, -v23
	v_pack_b32_f16 v2, v2, v7
	v_fma_f16 v3, v9, v8, v3
	s_waitcnt vmcnt(4)
	v_mul_f16_sdwa v7, v11, v6 dst_sel:DWORD dst_unused:UNUSED_PAD src0_sel:WORD_1 src1_sel:DWORD
	ds_write2_b32 v14, v4, v2 offset0:70 offset1:140
	v_pack_b32_f16 v4, v3, v5
	v_fma_f16 v5, v11, v10, v7
	global_load_dword v7, v[0:1], off
	v_mov_b32_e32 v2, s2
	v_add_co_u32_e32 v0, vcc, s3, v0
	v_addc_co_u32_e32 v1, vcc, v1, v2, vcc
	global_load_dword v8, v[0:1], off
	v_add_co_u32_e32 v0, vcc, s3, v0
	v_addc_co_u32_e32 v1, vcc, v1, v2, vcc
	v_mul_f16_sdwa v13, v11, v10 dst_sel:DWORD dst_unused:UNUSED_PAD src0_sel:WORD_1 src1_sel:DWORD
	global_load_dword v9, v[0:1], off
	global_load_dword v10, v41, s[6:7] offset:2240
	v_add_co_u32_e32 v0, vcc, s3, v0
	v_addc_co_u32_e32 v1, vcc, v1, v2, vcc
	v_fma_f16 v6, v11, v6, -v13
	global_load_dword v11, v[0:1], off
	v_add_co_u32_e32 v0, vcc, s3, v0
	v_addc_co_u32_e32 v1, vcc, v1, v2, vcc
	global_load_dword v13, v[0:1], off
	global_load_dword v21, v41, s[6:7] offset:2520
	global_load_dword v22, v41, s[6:7] offset:2800
	v_add_co_u32_e32 v0, vcc, s3, v0
	v_addc_co_u32_e32 v1, vcc, v1, v2, vcc
	global_load_dword v23, v[0:1], off
	v_add_co_u32_e32 v0, vcc, s3, v0
	v_addc_co_u32_e32 v1, vcc, v1, v2, vcc
	global_load_dword v24, v[0:1], off
	global_load_dword v25, v41, s[6:7] offset:3080
	global_load_dword v26, v41, s[6:7] offset:3360
	v_add_co_u32_e32 v0, vcc, s3, v0
	v_addc_co_u32_e32 v1, vcc, v1, v2, vcc
	;; [unrolled: 8-line block ×3, first 2 shown]
	v_add_co_u32_e32 v2, vcc, s10, v18
	global_load_dword v32, v[0:1], off
	v_addc_co_u32_e32 v3, vcc, 0, v12, vcc
	global_load_dword v12, v[2:3], off offset:104
	v_mov_b32_e32 v18, s2
	v_add_co_u32_e32 v0, vcc, s3, v0
	v_addc_co_u32_e32 v1, vcc, v1, v18, vcc
	global_load_dword v18, v[0:1], off
	global_load_dword v33, v[2:3], off offset:384
	v_pack_b32_f16 v0, v5, v6
	v_add_u32_e32 v1, 0x200, v14
	ds_write2_b32 v1, v4, v0 offset0:82 offset1:152
	s_waitcnt vmcnt(20)
	v_lshrrev_b32_e32 v0, 16, v19
	v_mul_f16_sdwa v1, v15, v0 dst_sel:DWORD dst_unused:UNUSED_PAD src0_sel:WORD_1 src1_sel:DWORD
	v_mul_f16_sdwa v2, v15, v19 dst_sel:DWORD dst_unused:UNUSED_PAD src0_sel:WORD_1 src1_sel:DWORD
	v_fma_f16 v1, v15, v19, v1
	v_fma_f16 v0, v15, v0, -v2
	v_pack_b32_f16 v0, v1, v0
	s_waitcnt vmcnt(19)
	v_lshrrev_b32_e32 v1, 16, v7
	v_mul_f16_sdwa v2, v16, v1 dst_sel:DWORD dst_unused:UNUSED_PAD src0_sel:WORD_1 src1_sel:DWORD
	v_mul_f16_sdwa v3, v16, v7 dst_sel:DWORD dst_unused:UNUSED_PAD src0_sel:WORD_1 src1_sel:DWORD
	v_fma_f16 v2, v16, v7, v2
	v_fma_f16 v1, v16, v1, -v3
	v_pack_b32_f16 v1, v2, v1
	v_add_u32_e32 v2, 0x400, v14
	ds_write2_b32 v2, v0, v1 offset0:94 offset1:164
	s_waitcnt vmcnt(18)
	v_lshrrev_b32_e32 v0, 16, v8
	v_mul_f16_sdwa v1, v17, v0 dst_sel:DWORD dst_unused:UNUSED_PAD src0_sel:WORD_1 src1_sel:DWORD
	v_mul_f16_sdwa v2, v17, v8 dst_sel:DWORD dst_unused:UNUSED_PAD src0_sel:WORD_1 src1_sel:DWORD
	v_fma_f16 v1, v17, v8, v1
	v_fma_f16 v0, v17, v0, -v2
	v_pack_b32_f16 v0, v1, v0
	s_waitcnt vmcnt(17)
	v_lshrrev_b32_e32 v1, 16, v9
	s_waitcnt vmcnt(16)
	v_mul_f16_sdwa v2, v10, v1 dst_sel:DWORD dst_unused:UNUSED_PAD src0_sel:WORD_1 src1_sel:DWORD
	v_mul_f16_sdwa v3, v10, v9 dst_sel:DWORD dst_unused:UNUSED_PAD src0_sel:WORD_1 src1_sel:DWORD
	v_fma_f16 v2, v10, v9, v2
	v_fma_f16 v1, v10, v1, -v3
	v_pack_b32_f16 v1, v2, v1
	v_add_u32_e32 v2, 0x600, v14
	ds_write2_b32 v2, v0, v1 offset0:106 offset1:176
	s_waitcnt vmcnt(15)
	v_lshrrev_b32_e32 v0, 16, v11
	s_waitcnt vmcnt(13)
	v_mul_f16_sdwa v1, v21, v0 dst_sel:DWORD dst_unused:UNUSED_PAD src0_sel:WORD_1 src1_sel:DWORD
	v_mul_f16_sdwa v2, v21, v11 dst_sel:DWORD dst_unused:UNUSED_PAD src0_sel:WORD_1 src1_sel:DWORD
	v_fma_f16 v1, v21, v11, v1
	v_fma_f16 v0, v21, v0, -v2
	v_pack_b32_f16 v0, v1, v0
	v_lshrrev_b32_e32 v1, 16, v13
	s_waitcnt vmcnt(12)
	v_mul_f16_sdwa v2, v22, v1 dst_sel:DWORD dst_unused:UNUSED_PAD src0_sel:WORD_1 src1_sel:DWORD
	v_mul_f16_sdwa v3, v22, v13 dst_sel:DWORD dst_unused:UNUSED_PAD src0_sel:WORD_1 src1_sel:DWORD
	v_fma_f16 v2, v22, v13, v2
	v_fma_f16 v1, v22, v1, -v3
	v_pack_b32_f16 v1, v2, v1
	v_add_u32_e32 v2, 0x800, v14
	ds_write2_b32 v2, v0, v1 offset0:118 offset1:188
	s_waitcnt vmcnt(11)
	v_lshrrev_b32_e32 v0, 16, v23
	s_waitcnt vmcnt(9)
	v_mul_f16_sdwa v1, v25, v0 dst_sel:DWORD dst_unused:UNUSED_PAD src0_sel:WORD_1 src1_sel:DWORD
	v_mul_f16_sdwa v2, v25, v23 dst_sel:DWORD dst_unused:UNUSED_PAD src0_sel:WORD_1 src1_sel:DWORD
	v_fma_f16 v1, v25, v23, v1
	v_fma_f16 v0, v25, v0, -v2
	v_pack_b32_f16 v0, v1, v0
	;; [unrolled: 17-line block ×3, first 2 shown]
	v_lshrrev_b32_e32 v1, 16, v28
	s_waitcnt vmcnt(4)
	v_mul_f16_sdwa v3, v31, v1 dst_sel:DWORD dst_unused:UNUSED_PAD src0_sel:WORD_1 src1_sel:DWORD
	v_mul_f16_sdwa v4, v31, v28 dst_sel:DWORD dst_unused:UNUSED_PAD src0_sel:WORD_1 src1_sel:DWORD
	v_fma_f16 v3, v31, v28, v3
	v_fma_f16 v1, v31, v1, -v4
	v_pack_b32_f16 v1, v3, v1
	ds_write2_b32 v2, v0, v1 offset0:142 offset1:212
	s_waitcnt vmcnt(3)
	v_lshrrev_b32_e32 v0, 16, v32
	s_waitcnt vmcnt(2)
	v_mul_f16_sdwa v1, v12, v0 dst_sel:DWORD dst_unused:UNUSED_PAD src0_sel:WORD_1 src1_sel:DWORD
	v_mul_f16_sdwa v2, v12, v32 dst_sel:DWORD dst_unused:UNUSED_PAD src0_sel:WORD_1 src1_sel:DWORD
	v_fma_f16 v1, v12, v32, v1
	v_fma_f16 v0, v12, v0, -v2
	v_pack_b32_f16 v0, v1, v0
	s_waitcnt vmcnt(1)
	v_lshrrev_b32_e32 v1, 16, v18
	s_waitcnt vmcnt(0)
	v_mul_f16_sdwa v2, v33, v1 dst_sel:DWORD dst_unused:UNUSED_PAD src0_sel:WORD_1 src1_sel:DWORD
	v_mul_f16_sdwa v3, v33, v18 dst_sel:DWORD dst_unused:UNUSED_PAD src0_sel:WORD_1 src1_sel:DWORD
	v_fma_f16 v2, v33, v18, v2
	v_fma_f16 v1, v33, v1, -v3
	v_pack_b32_f16 v1, v2, v1
	v_add_u32_e32 v2, 0x1000, v14
	ds_write2_b32 v2, v0, v1 offset0:26 offset1:96
.LBB0_3:
	s_or_b64 exec, exec, s[8:9]
	s_load_dwordx2 s[2:3], s[4:5], 0x20
	s_load_dwordx2 s[14:15], s[4:5], 0x8
	v_mov_b32_e32 v0, 0
	s_waitcnt lgkmcnt(0)
	s_barrier
	s_waitcnt lgkmcnt(0)
                                        ; implicit-def: $vgpr16
                                        ; implicit-def: $vgpr11
                                        ; implicit-def: $vgpr9
                                        ; implicit-def: $vgpr7
                                        ; implicit-def: $vgpr5
                                        ; implicit-def: $vgpr3
                                        ; implicit-def: $vgpr13
                                        ; implicit-def: $vgpr15
                                        ; implicit-def: $vgpr39
	s_and_saveexec_b64 s[4:5], s[0:1]
	s_cbranch_execz .LBB0_5
; %bb.4:
	v_lshl_add_u32 v16, v29, 2, v41
	ds_read2_b32 v[0:1], v16 offset1:70
	ds_read2_b32 v[14:15], v16 offset0:140 offset1:210
	v_add_u32_e32 v2, 0x400, v16
	v_add_u32_e32 v4, 0x800, v16
	;; [unrolled: 1-line block ×5, first 2 shown]
	ds_read2_b32 v[12:13], v2 offset0:24 offset1:94
	ds_read2_b32 v[2:3], v2 offset0:164 offset1:234
	;; [unrolled: 1-line block ×6, first 2 shown]
	ds_read_b32 v16, v16 offset:4480
	s_waitcnt lgkmcnt(7)
	v_alignbit_b32 v39, v14, v14, 16
.LBB0_5:
	s_or_b64 exec, exec, s[4:5]
	s_waitcnt lgkmcnt(0)
	v_pk_add_f16 v14, v1, v16 neg_lo:[0,1] neg_hi:[0,1]
	s_mov_b32 s27, 0xb5c8
	v_pk_add_f16 v17, v16, v1
	s_movk_i32 s8, 0x3b76
	v_mul_f16_sdwa v26, v14, s27 dst_sel:DWORD dst_unused:UNUSED_PAD src0_sel:WORD_1 src1_sel:DWORD
	v_fma_f16 v18, v17, s8, v26
	v_lshrrev_b32_e32 v59, 16, v17
	s_movk_i32 s9, 0x39e9
	v_mul_f16_e32 v35, 0xb964, v14
	s_mov_b32 s26, 0xbb29
	v_add_f16_e32 v19, v18, v0
	v_fma_f16 v18, v59, s9, -v35
	s_movk_i32 s10, 0x3722
	v_mul_f16_sdwa v48, v14, s26 dst_sel:DWORD dst_unused:UNUSED_PAD src0_sel:WORD_1 src1_sel:DWORD
	v_add_f16_sdwa v21, v18, v0 dst_sel:DWORD dst_unused:UNUSED_PAD src0_sel:DWORD src1_sel:WORD_1
	v_mul_f16_e32 v61, 0xbb29, v14
	v_fma_f16 v18, v17, s10, v48
	v_add_f16_e32 v22, v18, v0
	v_fma_f16 v18, v59, s10, -v61
	s_mov_b32 s31, 0xb964
	v_add_f16_sdwa v24, v18, v0 dst_sel:DWORD dst_unused:UNUSED_PAD src0_sel:DWORD src1_sel:WORD_1
	v_pk_add_f16 v18, v11, v39 op_sel:[1,0] op_sel_hi:[0,1]
	v_pk_add_f16 v23, v39, v11 op_sel:[1,0] op_sel_hi:[0,1] neg_lo:[0,1] neg_hi:[0,1]
	v_lshrrev_b32_e32 v58, 16, v18
	v_mul_f16_sdwa v32, v23, s31 dst_sel:DWORD dst_unused:UNUSED_PAD src0_sel:WORD_1 src1_sel:DWORD
	v_fma_f16 v25, v58, s9, v32
	s_movk_i32 s16, 0x2de8
	v_mul_f16_e32 v40, 0xbbf7, v23
	s_mov_b32 s11, 0xba62
	v_add_f16_e32 v27, v25, v19
	v_fma_f16 v19, v18, s16, -v40
	s_mov_b32 s17, 0xb8d2
	v_mul_f16_sdwa v53, v23, s11 dst_sel:DWORD dst_unused:UNUSED_PAD src0_sel:WORD_1 src1_sel:DWORD
	v_add_f16_e32 v21, v19, v21
	v_mul_f16_e32 v68, 0xba62, v23
	v_fma_f16 v19, v58, s17, v53
	v_add_f16_e32 v22, v19, v22
	v_fma_f16 v19, v18, s17, -v68
	v_add_f16_e32 v24, v19, v24
	v_pk_add_f16 v19, v15, v10 neg_lo:[0,1] neg_hi:[0,1]
	v_pk_add_f16 v25, v10, v15
	v_mul_f16_sdwa v36, v19, s26 dst_sel:DWORD dst_unused:UNUSED_PAD src0_sel:WORD_1 src1_sel:DWORD
	v_fma_f16 v28, v25, s10, v36
	v_lshrrev_b32_e32 v64, 16, v25
	v_mul_f16_e32 v50, 0xba62, v19
	s_movk_i32 s34, 0x31e1
	v_add_f16_e32 v28, v28, v27
	v_fma_f16 v27, v64, s17, -v50
	s_mov_b32 s19, 0xbbdd
	v_mul_f16_sdwa v56, v19, s34 dst_sel:DWORD dst_unused:UNUSED_PAD src0_sel:WORD_1 src1_sel:DWORD
	v_add_f16_e32 v21, v27, v21
	v_mul_f16_e32 v70, 0x31e1, v19
	v_fma_f16 v27, v25, s19, v56
	v_add_f16_e32 v22, v27, v22
	v_fma_f16 v27, v64, s19, -v70
	s_mov_b32 s28, 0xbbf7
	v_add_f16_e32 v30, v27, v24
	v_pk_add_f16 v24, v12, v9 neg_lo:[0,1] neg_hi:[0,1]
	v_pk_add_f16 v27, v9, v12
	v_mul_f16_sdwa v43, v24, s28 dst_sel:DWORD dst_unused:UNUSED_PAD src0_sel:WORD_1 src1_sel:DWORD
	v_fma_f16 v31, v27, s16, v43
	v_lshrrev_b32_e32 v66, 16, v27
	v_mul_f16_e32 v54, 0xb1e1, v24
	s_movk_i32 s33, 0x3bb2
	v_add_f16_e32 v31, v31, v28
	v_fma_f16 v28, v66, s19, -v54
	s_mov_b32 s20, 0xb461
	v_mul_f16_sdwa v62, v24, s33 dst_sel:DWORD dst_unused:UNUSED_PAD src0_sel:WORD_1 src1_sel:DWORD
	v_add_f16_e32 v21, v28, v21
	v_mul_f16_e32 v75, 0x3bb2, v24
	v_fma_f16 v28, v27, s20, v62
	v_add_f16_e32 v22, v28, v22
	v_fma_f16 v28, v66, s20, -v75
	v_add_f16_e32 v30, v28, v30
	v_pk_add_f16 v28, v13, v8 neg_lo:[0,1] neg_hi:[0,1]
	s_mov_b32 s18, 0xbbb2
	v_pk_add_f16 v33, v8, v13
	v_mul_f16_sdwa v51, v28, s18 dst_sel:DWORD dst_unused:UNUSED_PAD src0_sel:WORD_1 src1_sel:DWORD
	v_fma_f16 v34, v33, s20, v51
	v_lshrrev_b32_e32 v69, 16, v33
	s_mov_b32 s22, 0xbacd
	v_mul_f16_e32 v60, 0x3836, v28
	s_movk_i32 s21, 0x3964
	v_add_f16_e32 v31, v34, v31
	v_fma_f16 v34, v69, s22, -v60
	v_mul_f16_sdwa v67, v28, s21 dst_sel:DWORD dst_unused:UNUSED_PAD src0_sel:WORD_1 src1_sel:DWORD
	v_add_f16_e32 v21, v34, v21
	v_mul_f16_e32 v77, 0x3964, v28
	v_fma_f16 v34, v33, s9, v67
	v_add_f16_e32 v22, v34, v22
	v_fma_f16 v34, v69, s9, -v77
	v_add_f16_e32 v30, v34, v30
	v_pk_add_f16 v34, v2, v7 neg_lo:[0,1] neg_hi:[0,1]
	v_pk_add_f16 v37, v7, v2
	v_mul_f16_sdwa v57, v34, s11 dst_sel:DWORD dst_unused:UNUSED_PAD src0_sel:WORD_1 src1_sel:DWORD
	v_fma_f16 v38, v37, s17, v57
	v_lshrrev_b32_e32 v74, 16, v37
	v_mul_f16_e32 v65, 0x3bb2, v34
	v_add_f16_e32 v31, v38, v31
	v_fma_f16 v38, v74, s20, -v65
	v_mul_f16_sdwa v71, v34, s27 dst_sel:DWORD dst_unused:UNUSED_PAD src0_sel:WORD_1 src1_sel:DWORD
	v_add_f16_e32 v21, v38, v21
	v_fma_f16 v38, v37, s8, v71
	v_mul_f16_e32 v81, 0xb5c8, v34
	v_add_f16_e32 v22, v38, v22
	v_fma_f16 v38, v74, s8, -v81
	v_add_f16_e32 v30, v38, v30
	s_mov_b32 s23, 0xb836
	v_pk_add_f16 v38, v3, v6 neg_lo:[0,1] neg_hi:[0,1]
	v_pk_add_f16 v49, v6, v3
	v_mul_f16_sdwa v63, v38, s23 dst_sel:DWORD dst_unused:UNUSED_PAD src0_sel:WORD_1 src1_sel:DWORD
	v_fma_f16 v45, v49, s22, v63
	v_lshrrev_b32_e32 v78, 16, v49
	v_mul_f16_e32 v72, 0x3b29, v38
	v_add_f16_e32 v31, v45, v31
	v_fma_f16 v45, v78, s10, -v72
	v_mul_f16_sdwa v76, v38, s28 dst_sel:DWORD dst_unused:UNUSED_PAD src0_sel:WORD_1 src1_sel:DWORD
	v_add_f16_e32 v45, v45, v21
	v_fma_f16 v21, v49, s16, v76
	v_mul_f16_e32 v89, 0xbbf7, v38
	s_mov_b32 s4, 0x3b7639e9
	s_mov_b32 s24, 0xb1e1
	v_pk_add_f16 v55, v5, v4
	v_pk_add_f16 v52, v4, v5 neg_lo:[0,1] neg_hi:[0,1]
	v_add_f16_e32 v47, v21, v22
	v_fma_f16 v21, v78, s16, -v89
	s_mov_b32 s5, 0xb964b5c8
	s_mov_b32 s29, 0xbbf7b964
	v_mul_f16_sdwa v73, v52, s24 dst_sel:DWORD dst_unused:UNUSED_PAD src0_sel:WORD_1 src1_sel:DWORD
	v_pk_mul_f16 v91, v17, s4
	v_lshrrev_b32_e32 v100, 16, v55
	v_mul_f16_e32 v90, 0x35c8, v52
	v_add_f16_e32 v88, v21, v30
	s_mov_b32 s25, 0x2de839e9
	s_mov_b32 s30, 0x3722b8d2
	v_fma_f16 v21, v55, s19, v73
	v_pk_fma_f16 v79, v14, s5, v91 op_sel:[0,0,1] op_sel_hi:[1,1,0]
	v_pk_mul_f16 v92, v23, s29
	v_fma_f16 v30, v100, s8, -v90
	v_pk_fma_f16 v91, v14, s5, v91 op_sel:[0,0,1] op_sel_hi:[1,1,0] neg_lo:[1,0,0] neg_hi:[1,0,0]
	s_mov_b32 s35, 0xba62bb29
	s_mov_b32 s36, 0x2de8bbdd
	v_add_f16_e32 v22, v21, v31
	v_pk_fma_f16 v80, v18, s25, v92
	v_add_f16_sdwa v21, v79, v0 dst_sel:DWORD dst_unused:UNUSED_PAD src0_sel:WORD_1 src1_sel:DWORD
	v_pk_mul_f16 v93, v25, s30
	v_add_f16_e32 v46, v30, v45
	v_pk_fma_f16 v92, v18, s25, v92 neg_lo:[0,0,1] neg_hi:[0,0,1]
	v_add_f16_sdwa v45, v91, v0 dst_sel:DWORD dst_unused:UNUSED_PAD src0_sel:DWORD src1_sel:WORD_1
	s_mov_b32 s37, 0xb1e1bbf7
	s_mov_b32 s38, 0xb461bacd
	v_add_f16_sdwa v21, v80, v21 dst_sel:DWORD dst_unused:UNUSED_PAD src0_sel:WORD_1 src1_sel:DWORD
	v_pk_fma_f16 v82, v19, s35, v93 op_sel:[0,0,1] op_sel_hi:[1,1,0]
	v_pk_mul_f16 v94, v27, s36
	v_pk_fma_f16 v93, v19, s35, v93 op_sel:[0,0,1] op_sel_hi:[1,1,0] neg_lo:[1,0,0] neg_hi:[1,0,0]
	v_add_f16_e32 v45, v92, v45
	s_mov_b32 s39, 0x3836bbb2
	s_mov_b32 s40, 0xb8d2b461
	v_add_f16_sdwa v21, v82, v21 dst_sel:DWORD dst_unused:UNUSED_PAD src0_sel:WORD_1 src1_sel:DWORD
	v_pk_fma_f16 v83, v24, s37, v94 op_sel:[0,0,1] op_sel_hi:[1,1,0]
	v_pk_mul_f16 v95, v33, s38
	v_pk_fma_f16 v94, v24, s37, v94 op_sel:[0,0,1] op_sel_hi:[1,1,0] neg_lo:[1,0,0] neg_hi:[1,0,0]
	v_add_f16_e32 v45, v93, v45
	;; [unrolled: 7-line block ×4, first 2 shown]
	s_mov_b32 s45, 0x35c8b1e1
	v_add_f16_sdwa v21, v85, v21 dst_sel:DWORD dst_unused:UNUSED_PAD src0_sel:WORD_1 src1_sel:DWORD
	v_pk_fma_f16 v86, v38, s43, v97 op_sel:[0,0,1] op_sel_hi:[1,1,0]
	v_pk_mul_f16 v98, v55, s44
	v_mul_f16_sdwa v99, v52, s23 dst_sel:DWORD dst_unused:UNUSED_PAD src0_sel:WORD_1 src1_sel:DWORD
	v_mul_f16_e32 v101, 0xb836, v52
	v_pk_fma_f16 v97, v38, s43, v97 op_sel:[0,0,1] op_sel_hi:[1,1,0] neg_lo:[1,0,0] neg_hi:[1,0,0]
	v_add_f16_e32 v45, v96, v45
	v_add_f16_sdwa v21, v86, v21 dst_sel:DWORD dst_unused:UNUSED_PAD src0_sel:WORD_1 src1_sel:DWORD
	v_pk_fma_f16 v87, v52, s45, v98 op_sel:[0,0,1] op_sel_hi:[1,1,0]
	v_fma_f16 v30, v55, s22, v99
	v_fma_f16 v31, v100, s22, -v101
	v_pk_fma_f16 v98, v52, s45, v98 op_sel:[0,0,1] op_sel_hi:[1,1,0] neg_lo:[1,0,0] neg_hi:[1,0,0]
	v_add_f16_e32 v45, v97, v45
	v_add_f16_sdwa v21, v87, v21 dst_sel:DWORD dst_unused:UNUSED_PAD src0_sel:WORD_1 src1_sel:DWORD
	v_add_f16_e32 v30, v30, v47
	v_add_f16_e32 v31, v31, v88
	s_movk_i32 s35, 0x3836
	s_movk_i32 s25, 0x3b29
	v_add_f16_e32 v47, v98, v45
	s_movk_i32 s29, 0x35c8
	v_mul_lo_u16_e32 v45, 17, v42
	s_barrier
	s_and_saveexec_b64 s[4:5], s[0:1]
	s_cbranch_execz .LBB0_7
; %bb.6:
	v_mul_f16_e32 v102, 0x2de8, v59
	s_movk_i32 s30, 0x3bf7
	v_fma_f16 v88, v14, s30, v102
	v_mul_f16_e32 v103, 0xbbdd, v18
	v_add_f16_sdwa v88, v88, v0 dst_sel:DWORD dst_unused:UNUSED_PAD src0_sel:DWORD src1_sel:WORD_1
	v_fma_f16 v104, v23, s34, v103
	v_add_f16_e32 v88, v104, v88
	v_mul_f16_e32 v104, 0xb461, v64
	v_fma_f16 v105, v19, s18, v104
	v_add_f16_e32 v88, v105, v88
	v_mul_f16_e32 v105, 0x3b76, v66
	v_fma_f16 v106, v24, s27, v105
	v_add_f16_e32 v88, v106, v88
	v_mul_f16_e32 v106, 0x3722, v69
	v_fma_f16 v107, v28, s25, v106
	v_add_f16_e32 v88, v107, v88
	v_mul_f16_e32 v107, 0xbacd, v74
	v_fma_f16 v108, v34, s35, v107
	v_add_f16_e32 v88, v108, v88
	v_mul_f16_e32 v108, 0xb8d2, v78
	v_fma_f16 v109, v38, s11, v108
	v_add_f16_e32 v88, v109, v88
	v_mul_f16_e32 v109, 0x39e9, v100
	v_fma_f16 v110, v52, s31, v109
	v_add_f16_e32 v88, v110, v88
	v_mul_f16_sdwa v110, v14, s28 dst_sel:DWORD dst_unused:UNUSED_PAD src0_sel:WORD_1 src1_sel:DWORD
	v_fma_f16 v111, v17, s16, v110
	v_mul_f16_sdwa v112, v23, s24 dst_sel:DWORD dst_unused:UNUSED_PAD src0_sel:WORD_1 src1_sel:DWORD
	v_add_f16_e32 v111, v111, v0
	v_fma_f16 v113, v58, s19, v112
	v_add_f16_e32 v111, v113, v111
	v_mul_f16_sdwa v113, v19, s33 dst_sel:DWORD dst_unused:UNUSED_PAD src0_sel:WORD_1 src1_sel:DWORD
	v_fma_f16 v114, v25, s20, v113
	v_add_f16_e32 v111, v114, v111
	v_mul_f16_sdwa v114, v24, s29 dst_sel:DWORD dst_unused:UNUSED_PAD src0_sel:WORD_1 src1_sel:DWORD
	;; [unrolled: 3-line block ×4, first 2 shown]
	v_fma_f16 v117, v37, s22, v116
	s_movk_i32 s36, 0x3a62
	v_add_f16_e32 v111, v117, v111
	v_mul_f16_sdwa v117, v38, s36 dst_sel:DWORD dst_unused:UNUSED_PAD src0_sel:WORD_1 src1_sel:DWORD
	v_fma_f16 v118, v49, s17, v117
	v_add_f16_e32 v111, v118, v111
	v_mul_f16_sdwa v118, v52, s21 dst_sel:DWORD dst_unused:UNUSED_PAD src0_sel:WORD_1 src1_sel:DWORD
	v_fma_f16 v119, v55, s9, v118
	v_add_f16_e32 v111, v119, v111
	v_mul_f16_e32 v119, 0xb461, v59
	v_fma_f16 v120, v14, s33, v119
	v_mul_f16_e32 v121, 0xbacd, v18
	v_add_f16_sdwa v120, v120, v0 dst_sel:DWORD dst_unused:UNUSED_PAD src0_sel:DWORD src1_sel:WORD_1
	v_fma_f16 v122, v23, s23, v121
	v_add_f16_e32 v120, v122, v120
	v_mul_f16_e32 v122, 0x39e9, v64
	v_fma_f16 v123, v19, s31, v122
	v_add_f16_e32 v120, v123, v120
	v_mul_f16_e32 v123, 0x3722, v66
	;; [unrolled: 3-line block ×6, first 2 shown]
	v_fma_f16 v128, v52, s36, v127
	v_add_f16_e32 v120, v128, v120
	v_mul_f16_sdwa v128, v14, s18 dst_sel:DWORD dst_unused:UNUSED_PAD src0_sel:WORD_1 src1_sel:DWORD
	v_fma_f16 v129, v17, s20, v128
	v_mul_f16_sdwa v130, v23, s35 dst_sel:DWORD dst_unused:UNUSED_PAD src0_sel:WORD_1 src1_sel:DWORD
	v_add_f16_e32 v129, v129, v0
	v_fma_f16 v131, v58, s22, v130
	v_add_f16_e32 v129, v131, v129
	v_mul_f16_sdwa v131, v19, s21 dst_sel:DWORD dst_unused:UNUSED_PAD src0_sel:WORD_1 src1_sel:DWORD
	v_fma_f16 v132, v25, s9, v131
	v_add_f16_e32 v129, v132, v129
	v_mul_f16_sdwa v132, v24, s26 dst_sel:DWORD dst_unused:UNUSED_PAD src0_sel:WORD_1 src1_sel:DWORD
	;; [unrolled: 3-line block ×6, first 2 shown]
	v_fma_f16 v137, v55, s17, v136
	v_add_f16_e32 v129, v137, v129
	v_mul_f16_e32 v137, 0xb8d2, v59
	v_fma_f16 v138, v14, s36, v137
	v_mul_f16_e32 v139, 0xb461, v18
	v_add_f16_sdwa v138, v138, v0 dst_sel:DWORD dst_unused:UNUSED_PAD src0_sel:DWORD src1_sel:WORD_1
	v_fma_f16 v140, v23, s18, v139
	v_add_f16_e32 v138, v140, v138
	v_mul_f16_e32 v140, 0x3b76, v64
	v_fma_f16 v141, v19, s29, v140
	v_add_f16_e32 v138, v141, v138
	v_mul_f16_e32 v141, 0xbacd, v66
	;; [unrolled: 3-line block ×6, first 2 shown]
	v_fma_f16 v146, v52, s26, v145
	v_add_f16_e32 v138, v146, v138
	v_mul_f16_sdwa v146, v14, s11 dst_sel:DWORD dst_unused:UNUSED_PAD src0_sel:WORD_1 src1_sel:DWORD
	v_fma_f16 v102, v14, s28, v102
	v_fma_f16 v147, v17, s17, v146
	v_mul_f16_sdwa v148, v23, s33 dst_sel:DWORD dst_unused:UNUSED_PAD src0_sel:WORD_1 src1_sel:DWORD
	v_add_f16_sdwa v102, v102, v0 dst_sel:DWORD dst_unused:UNUSED_PAD src0_sel:DWORD src1_sel:WORD_1
	v_fma_f16 v103, v23, s24, v103
	v_add_f16_e32 v147, v147, v0
	v_fma_f16 v149, v58, s20, v148
	v_add_f16_e32 v102, v103, v102
	;; [unrolled: 2-line block ×3, first 2 shown]
	v_mul_f16_sdwa v149, v19, s27 dst_sel:DWORD dst_unused:UNUSED_PAD src0_sel:WORD_1 src1_sel:DWORD
	v_add_f16_e32 v102, v103, v102
	v_fma_f16 v103, v24, s29, v105
	v_fma_f16 v150, v25, s8, v149
	v_add_f16_e32 v102, v103, v102
	v_fma_f16 v103, v28, s26, v106
	v_add_f16_e32 v147, v150, v147
	v_mul_f16_sdwa v150, v24, s23 dst_sel:DWORD dst_unused:UNUSED_PAD src0_sel:WORD_1 src1_sel:DWORD
	v_add_f16_e32 v102, v103, v102
	v_fma_f16 v103, v34, s23, v107
	v_fma_f16 v151, v27, s22, v150
	v_add_f16_e32 v102, v103, v102
	v_fma_f16 v103, v38, s36, v108
	v_add_f16_e32 v147, v151, v147
	v_mul_f16_sdwa v151, v28, s30 dst_sel:DWORD dst_unused:UNUSED_PAD src0_sel:WORD_1 src1_sel:DWORD
	v_add_f16_e32 v102, v103, v102
	v_fma_f16 v103, v52, s21, v109
	v_fma_f16 v152, v33, s16, v151
	v_add_f16_e32 v102, v103, v102
	v_fma_f16 v103, v17, s16, -v110
	v_add_f16_e32 v147, v152, v147
	v_mul_f16_sdwa v152, v34, s31 dst_sel:DWORD dst_unused:UNUSED_PAD src0_sel:WORD_1 src1_sel:DWORD
	v_add_f16_e32 v103, v103, v0
	v_fma_f16 v104, v58, s19, -v112
	v_fma_f16 v153, v37, s9, v152
	v_add_f16_e32 v103, v104, v103
	v_fma_f16 v104, v25, s20, -v113
	v_add_f16_e32 v147, v153, v147
	v_mul_f16_sdwa v153, v38, s24 dst_sel:DWORD dst_unused:UNUSED_PAD src0_sel:WORD_1 src1_sel:DWORD
	v_add_f16_e32 v103, v104, v103
	v_fma_f16 v104, v27, s8, -v114
	;; [unrolled: 7-line block ×3, first 2 shown]
	v_fma_f16 v155, v55, s10, v154
	v_add_f16_e32 v103, v104, v103
	v_fma_f16 v105, v49, s17, -v117
	v_add_f16_e32 v147, v155, v147
	v_mul_f16_e32 v155, 0xbacd, v59
	v_add_f16_e32 v103, v105, v103
	v_fma_f16 v106, v55, s9, -v118
	v_fma_f16 v156, v14, s35, v155
	v_mul_f16_e32 v157, 0x3722, v18
	v_add_f16_e32 v103, v106, v103
	v_mul_f16_e32 v106, 0x39e9, v59
	v_mul_f16_e32 v59, 0x3722, v59
	v_add_f16_sdwa v156, v156, v0 dst_sel:DWORD dst_unused:UNUSED_PAD src0_sel:DWORD src1_sel:WORD_1
	v_fma_f16 v158, v23, s26, v157
	v_add_f16_e32 v59, v61, v59
	v_mul_f16_e32 v61, 0xb8d2, v18
	v_add_f16_e32 v156, v158, v156
	v_mul_f16_e32 v158, 0x2de8, v64
	v_add_f16_e32 v61, v68, v61
	v_add_f16_sdwa v59, v59, v0 dst_sel:DWORD dst_unused:UNUSED_PAD src0_sel:DWORD src1_sel:WORD_1
	v_fma_f16 v159, v19, s30, v158
	v_add_f16_e32 v59, v61, v59
	v_mul_f16_e32 v61, 0xbbdd, v64
	v_add_f16_e32 v156, v159, v156
	v_mul_f16_e32 v159, 0xb8d2, v66
	v_add_f16_e32 v61, v70, v61
	v_fma_f16 v160, v24, s11, v159
	v_add_f16_e32 v59, v61, v59
	v_mul_f16_e32 v61, 0xb461, v66
	v_add_f16_e32 v156, v160, v156
	v_mul_f16_e32 v160, 0x3b76, v69
	v_add_f16_e32 v61, v75, v61
	;; [unrolled: 6-line block ×3, first 2 shown]
	v_fma_f16 v162, v34, s34, v161
	v_add_f16_e32 v59, v61, v59
	v_mul_f16_e32 v61, 0x3b76, v74
	v_add_f16_e32 v156, v162, v156
	v_mul_f16_e32 v162, 0x39e9, v78
	v_fma_f16 v155, v14, s23, v155
	v_fma_f16 v137, v14, s11, v137
	;; [unrolled: 1-line block ×3, first 2 shown]
	v_mul_f16_e32 v75, 0x2de8, v18
	v_add_f16_e32 v61, v81, v61
	v_add_f16_e32 v35, v35, v106
	v_fma_f16 v163, v38, s31, v162
	v_mul_f16_sdwa v166, v23, s25 dst_sel:DWORD dst_unused:UNUSED_PAD src0_sel:WORD_1 src1_sel:DWORD
	v_add_f16_sdwa v155, v155, v0 dst_sel:DWORD dst_unused:UNUSED_PAD src0_sel:DWORD src1_sel:WORD_1
	v_fma_f16 v157, v23, s25, v157
	v_add_f16_sdwa v137, v137, v0 dst_sel:DWORD dst_unused:UNUSED_PAD src0_sel:DWORD src1_sel:WORD_1
	v_fma_f16 v139, v23, s33, v139
	;; [unrolled: 2-line block ×3, first 2 shown]
	v_mul_f16_e32 v68, 0x3722, v17
	v_mul_f16_e32 v64, 0xb8d2, v64
	v_add_f16_e32 v59, v61, v59
	v_mul_f16_e32 v61, 0x2de8, v78
	v_add_f16_sdwa v35, v35, v0 dst_sel:DWORD dst_unused:UNUSED_PAD src0_sel:DWORD src1_sel:WORD_1
	v_add_f16_e32 v40, v40, v75
	v_add_f16_e32 v156, v163, v156
	v_mul_f16_e32 v163, 0xb461, v100
	v_fma_f16 v167, v58, s10, v166
	v_add_f16_e32 v155, v157, v155
	v_fma_f16 v157, v19, s28, v158
	v_fma_f16 v158, v58, s10, -v166
	v_add_f16_e32 v137, v139, v137
	v_fma_f16 v139, v19, s27, v140
	v_fma_f16 v140, v58, s20, -v148
	;; [unrolled: 3-line block ×3, first 2 shown]
	v_mul_f16_e32 v70, 0x39e9, v58
	v_mul_f16_e32 v58, 0xb8d2, v58
	v_add_f16_e32 v61, v89, v61
	v_mul_f16_e32 v66, 0xbbdd, v66
	v_sub_f16_e32 v48, v68, v48
	v_add_f16_e32 v35, v40, v35
	v_add_f16_e32 v40, v50, v64
	v_fma_f16 v164, v52, s33, v163
	v_add_f16_e32 v155, v157, v155
	v_fma_f16 v157, v24, s36, v159
	;; [unrolled: 2-line block ×4, first 2 shown]
	v_alignbit_b32 v104, v0, v0, 16
	v_mul_f16_e32 v81, 0xbbdd, v25
	v_add_f16_e32 v59, v61, v59
	v_mul_f16_e32 v61, 0xbacd, v100
	v_mul_f16_e32 v69, 0xbacd, v69
	v_sub_f16_e32 v53, v58, v53
	v_add_f16_e32 v48, v48, v0
	v_add_f16_e32 v35, v40, v35
	;; [unrolled: 1-line block ×4, first 2 shown]
	v_mul_f16_sdwa v164, v14, s23 dst_sel:DWORD dst_unused:UNUSED_PAD src0_sel:WORD_1 src1_sel:DWORD
	v_add_f16_e32 v155, v157, v155
	v_fma_f16 v157, v28, s27, v160
	v_add_f16_e32 v137, v139, v137
	v_fma_f16 v139, v28, s30, v142
	;; [unrolled: 2-line block ×3, first 2 shown]
	v_alignbit_b32 v39, v39, v39, 16
	v_add_f16_e32 v61, v101, v61
	v_mul_f16_e32 v101, 0xb461, v27
	v_mul_f16_e32 v74, 0xb461, v74
	v_add_f16_e32 v48, v53, v48
	v_sub_f16_e32 v56, v81, v56
	v_add_f16_e32 v35, v40, v35
	v_add_f16_e32 v40, v60, v69
	v_pk_add_f16 v1, v1, v104 op_sel:[0,1] op_sel_hi:[1,0]
	v_fma_f16 v165, v17, s22, v164
	v_add_f16_e32 v155, v157, v155
	v_fma_f16 v157, v34, s24, v161
	v_add_f16_e32 v137, v139, v137
	;; [unrolled: 2-line block ×3, first 2 shown]
	v_fma_f16 v121, v34, s30, v125
	v_mul_f16_e32 v68, 0x39e9, v33
	v_mul_f16_e32 v78, 0x3722, v78
	v_add_f16_e32 v48, v56, v48
	v_sub_f16_e32 v62, v101, v62
	v_add_f16_e32 v35, v40, v35
	v_add_f16_e32 v40, v65, v74
	v_pk_add_f16 v1, v39, v1
	v_add_f16_e32 v165, v165, v0
	v_add_f16_e32 v155, v157, v155
	v_fma_f16 v157, v38, s21, v162
	v_add_f16_e32 v137, v139, v137
	v_fma_f16 v139, v38, s24, v144
	;; [unrolled: 2-line block ×3, first 2 shown]
	v_mul_f16_e32 v53, 0x3b76, v37
	v_mul_f16_e32 v100, 0x3b76, v100
	v_add_f16_e32 v48, v62, v48
	v_sub_f16_e32 v67, v68, v67
	v_add_f16_e32 v35, v40, v35
	v_add_f16_e32 v40, v72, v78
	v_pk_add_f16 v1, v15, v1
	v_add_f16_e32 v165, v167, v165
	v_mul_f16_sdwa v167, v19, s28 dst_sel:DWORD dst_unused:UNUSED_PAD src0_sel:WORD_1 src1_sel:DWORD
	v_add_f16_e32 v155, v157, v155
	v_fma_f16 v157, v52, s18, v163
	v_add_f16_e32 v137, v139, v137
	v_fma_f16 v139, v52, s25, v145
	v_add_f16_e32 v119, v121, v119
	v_fma_f16 v121, v52, s11, v127
	v_mul_f16_e32 v105, 0x3b76, v17
	v_mul_f16_e32 v56, 0x2de8, v49
	v_add_f16_e32 v48, v67, v48
	v_sub_f16_e32 v53, v53, v71
	v_add_f16_e32 v35, v40, v35
	v_add_f16_e32 v40, v90, v100
	s_mov_b32 s26, 0xffff
	v_pk_add_f16 v1, v12, v1
	v_fma_f16 v168, v25, s16, v167
	v_add_f16_e32 v155, v157, v155
	v_fma_f16 v157, v17, s22, -v164
	v_add_f16_e32 v137, v139, v137
	v_fma_f16 v139, v17, s17, -v146
	;; [unrolled: 2-line block ×3, first 2 shown]
	v_mul_f16_e32 v62, 0xbacd, v55
	v_add_f16_e32 v48, v53, v48
	v_sub_f16_e32 v53, v56, v76
	v_add_f16_e32 v35, v40, v35
	v_bfi_b32 v40, s26, v79, v91
	v_sub_f16_e32 v26, v105, v26
	v_pk_add_f16 v1, v13, v1
	v_add_f16_e32 v165, v168, v165
	v_mul_f16_sdwa v168, v24, s36 dst_sel:DWORD dst_unused:UNUSED_PAD src0_sel:WORD_1 src1_sel:DWORD
	v_add_f16_e32 v157, v157, v0
	v_add_f16_e32 v139, v139, v0
	;; [unrolled: 1-line block ×3, first 2 shown]
	v_mul_f16_e32 v77, 0x3722, v25
	v_add_f16_e32 v48, v53, v48
	v_sub_f16_e32 v53, v62, v99
	v_bfi_b32 v50, s26, v80, v92
	v_add_f16_e32 v0, v26, v0
	v_sub_f16_e32 v26, v70, v32
	v_pk_add_f16 v1, v2, v1
	v_pk_add_f16 v2, v40, v104
	v_fma_f16 v169, v27, s17, v168
	v_mul_f16_e32 v89, 0x2de8, v27
	v_add_f16_e32 v48, v53, v48
	v_bfi_b32 v53, s26, v82, v93
	v_add_f16_e32 v0, v26, v0
	v_sub_f16_e32 v26, v77, v36
	v_pk_add_f16 v2, v50, v2
	v_add_f16_e32 v165, v169, v165
	v_mul_f16_sdwa v169, v28, s27 dst_sel:DWORD dst_unused:UNUSED_PAD src0_sel:WORD_1 src1_sel:DWORD
	v_add_f16_e32 v59, v61, v59
	v_mul_f16_e32 v61, 0xb461, v33
	v_bfi_b32 v54, s26, v83, v94
	v_add_f16_e32 v0, v26, v0
	v_sub_f16_e32 v26, v89, v43
	v_pk_add_f16 v1, v3, v1
	v_pk_add_f16 v2, v53, v2
	v_fma_f16 v170, v33, s8, v169
	v_add_f16_e32 v139, v140, v139
	v_fma_f16 v140, v25, s8, -v149
	v_add_f16_e32 v121, v122, v121
	v_fma_f16 v122, v25, s9, -v131
	v_mul_f16_e32 v58, 0xb8d2, v37
	v_bfi_b32 v56, s26, v84, v95
	v_add_f16_e32 v0, v26, v0
	v_sub_f16_e32 v26, v61, v51
	v_pk_add_f16 v1, v4, v1
	v_pk_add_f16 v2, v54, v2
	v_add_f16_e32 v165, v170, v165
	v_mul_f16_sdwa v170, v34, s24 dst_sel:DWORD dst_unused:UNUSED_PAD src0_sel:WORD_1 src1_sel:DWORD
	v_add_f16_e32 v157, v158, v157
	v_fma_f16 v158, v25, s16, -v167
	v_add_f16_e32 v139, v140, v139
	v_fma_f16 v140, v27, s22, -v150
	;; [unrolled: 2-line block ×3, first 2 shown]
	v_mul_f16_e32 v81, 0xbacd, v49
	v_bfi_b32 v60, s26, v85, v96
	v_add_f16_e32 v0, v26, v0
	v_sub_f16_e32 v26, v58, v57
	v_pk_add_f16 v1, v5, v1
	v_pk_add_f16 v2, v56, v2
	v_fma_f16 v171, v37, s19, v170
	v_add_f16_e32 v157, v158, v157
	v_fma_f16 v158, v27, s17, -v168
	v_add_f16_e32 v139, v140, v139
	v_fma_f16 v140, v33, s16, -v151
	;; [unrolled: 2-line block ×3, first 2 shown]
	v_mul_f16_e32 v101, 0xbbdd, v55
	v_bfi_b32 v62, s26, v86, v97
	v_add_f16_e32 v0, v26, v0
	v_sub_f16_e32 v26, v81, v63
	v_pk_add_f16 v1, v6, v1
	v_pk_add_f16 v2, v60, v2
	v_add_f16_e32 v165, v171, v165
	v_mul_f16_sdwa v171, v38, s21 dst_sel:DWORD dst_unused:UNUSED_PAD src0_sel:WORD_1 src1_sel:DWORD
	v_add_f16_e32 v157, v158, v157
	v_fma_f16 v158, v33, s8, -v169
	v_add_f16_e32 v139, v140, v139
	v_fma_f16 v140, v37, s9, -v152
	;; [unrolled: 2-line block ×3, first 2 shown]
	v_bfi_b32 v64, s26, v87, v98
	v_add_f16_e32 v0, v26, v0
	v_sub_f16_e32 v26, v101, v73
	v_pk_add_f16 v1, v7, v1
	v_pk_add_f16 v2, v62, v2
	v_fma_f16 v172, v49, s9, v171
	v_add_f16_e32 v157, v158, v157
	v_fma_f16 v158, v37, s19, -v170
	v_add_f16_e32 v139, v140, v139
	v_fma_f16 v140, v49, s19, -v153
	;; [unrolled: 2-line block ×3, first 2 shown]
	v_add_f16_e32 v0, v26, v0
	v_pk_add_f16 v1, v8, v1
	v_pk_add_f16 v2, v64, v2
	v_add_f16_e32 v165, v172, v165
	v_mul_f16_sdwa v172, v52, s18 dst_sel:DWORD dst_unused:UNUSED_PAD src0_sel:WORD_1 src1_sel:DWORD
	v_add_f16_e32 v157, v158, v157
	v_fma_f16 v158, v49, s9, -v171
	v_add_f16_e32 v139, v140, v139
	v_fma_f16 v140, v55, s10, -v154
	v_add_f16_e32 v121, v122, v121
	v_fma_f16 v122, v55, s17, -v136
	v_add_lshl_u32 v12, v29, v45, 2
	v_pk_add_f16 v1, v9, v1
	v_alignbit_b32 v3, v35, v2, 16
	v_pack_b32_f16 v0, v0, v2
	v_add_f16_e32 v157, v158, v157
	v_fma_f16 v158, v55, s20, -v172
	v_add_f16_e32 v139, v140, v139
	v_add_f16_e32 v121, v122, v121
	v_pk_add_f16 v1, v10, v1
	ds_write2_b32 v12, v0, v3 offset0:1 offset1:2
	v_pack_b32_f16 v0, v48, v59
	v_pack_b32_f16 v2, v103, v102
	v_add_f16_e32 v157, v158, v157
	v_pk_add_f16 v1, v11, v1
	ds_write2_b32 v12, v0, v2 offset0:3 offset1:4
	v_pack_b32_f16 v0, v139, v137
	v_pack_b32_f16 v2, v121, v119
	v_pk_add_f16 v1, v16, v1
	ds_write2_b32 v12, v2, v0 offset0:5 offset1:6
	v_pack_b32_f16 v0, v157, v155
	ds_write2_b32 v12, v1, v0 offset1:7
	v_pk_mul_f16 v0, v17, s19 op_sel_hi:[1,0]
	v_pk_fma_f16 v1, v14, s24, v0 op_sel:[0,0,1] op_sel_hi:[1,0,0] neg_lo:[1,0,0] neg_hi:[1,0,0]
	v_pk_mul_f16 v2, v23, s29 op_sel_hi:[1,0]
	v_pk_add_f16 v1, v1, v104
	v_pk_fma_f16 v3, v18, s8, v2 op_sel_hi:[1,0,1] neg_lo:[0,0,1] neg_hi:[0,0,1]
	v_pk_add_f16 v1, v3, v1
	v_pk_mul_f16 v3, v25, s22 op_sel_hi:[1,0]
	v_pk_fma_f16 v4, v19, s23, v3 op_sel:[0,0,1] op_sel_hi:[1,0,0] neg_lo:[1,0,0] neg_hi:[1,0,0]
	v_pk_add_f16 v1, v4, v1
	v_pk_mul_f16 v4, v27, s9 op_sel_hi:[1,0]
	v_pk_fma_f16 v5, v24, s21, v4 op_sel:[0,0,1] op_sel_hi:[1,0,0] neg_lo:[1,0,0] neg_hi:[1,0,0]
	v_pk_add_f16 v1, v5, v1
	v_pk_mul_f16 v5, v33, s17 op_sel_hi:[1,0]
	v_pk_fma_f16 v0, v14, s24, v0 op_sel:[0,0,1] op_sel_hi:[1,0,0]
	v_pk_fma_f16 v6, v28, s11, v5 op_sel:[0,0,1] op_sel_hi:[1,0,0] neg_lo:[1,0,0] neg_hi:[1,0,0]
	v_pk_add_f16 v0, v0, v104
	v_pk_fma_f16 v2, v18, s8, v2 op_sel_hi:[1,0,1]
	v_pk_add_f16 v1, v6, v1
	v_pk_mul_f16 v6, v37, s10 op_sel_hi:[1,0]
	v_pk_add_f16 v0, v2, v0
	v_pk_fma_f16 v2, v19, s23, v3 op_sel:[0,0,1] op_sel_hi:[1,0,0]
	v_pk_fma_f16 v7, v34, s25, v6 op_sel:[0,0,1] op_sel_hi:[1,0,0] neg_lo:[1,0,0] neg_hi:[1,0,0]
	v_pk_add_f16 v0, v2, v0
	v_pk_fma_f16 v2, v24, s21, v4 op_sel:[0,0,1] op_sel_hi:[1,0,0]
	v_pk_add_f16 v1, v7, v1
	v_pk_mul_f16 v7, v49, s20 op_sel_hi:[1,0]
	v_pk_add_f16 v0, v2, v0
	v_pk_fma_f16 v2, v28, s11, v5 op_sel:[0,0,1] op_sel_hi:[1,0,0]
	v_pk_fma_f16 v8, v38, s18, v7 op_sel:[0,0,1] op_sel_hi:[1,0,0] neg_lo:[1,0,0] neg_hi:[1,0,0]
	v_pk_add_f16 v0, v2, v0
	v_pk_fma_f16 v2, v34, s25, v6 op_sel:[0,0,1] op_sel_hi:[1,0,0]
	;; [unrolled: 7-line block ×3, first 2 shown]
	v_fma_f16 v173, v55, s20, v172
	v_pk_add_f16 v1, v9, v1
	v_pk_add_f16 v0, v2, v0
	v_add_f16_e32 v165, v173, v165
	v_alignbit_b32 v2, v1, v0, 16
	v_alignbit_b32 v0, v0, v1, 16
	ds_write2_b32 v12, v0, v2 offset0:8 offset1:9
	v_pack_b32_f16 v0, v147, v138
	v_pack_b32_f16 v1, v165, v156
	ds_write2_b32 v12, v1, v0 offset0:10 offset1:11
	v_pack_b32_f16 v0, v111, v88
	v_pack_b32_f16 v1, v129, v120
	s_mov_b32 s8, 0x5040100
	ds_write2_b32 v12, v1, v0 offset0:12 offset1:13
	v_perm_b32 v0, v46, v21, s8
	v_perm_b32 v1, v31, v30, s8
	ds_write2_b32 v12, v1, v0 offset0:14 offset1:15
	v_perm_b32 v0, v47, v22, s8
	ds_write_b32 v12, v0 offset:64
.LBB0_7:
	s_or_b64 exec, exec, s[4:5]
	s_load_dwordx4 s[8:11], s[2:3], 0x0
	s_movk_i32 s2, 0xff
	v_add_co_u32_e32 v4, vcc, s2, v42
	s_movk_i32 s2, 0x154
	v_add_co_u32_e32 v5, vcc, s2, v42
	;; [unrolled: 2-line block ×4, first 2 shown]
	s_movk_i32 s2, 0xf1
	v_mul_lo_u16_sdwa v3, v42, s2 dst_sel:DWORD dst_unused:UNUSED_PAD src0_sel:BYTE_0 src1_sel:DWORD
	v_add_u16_e32 v1, 0x55, v42
	v_lshrrev_b16_e32 v18, 12, v3
	v_mul_lo_u16_sdwa v2, v1, s2 dst_sel:DWORD dst_unused:UNUSED_PAD src0_sel:BYTE_0 src1_sel:DWORD
	v_mul_lo_u16_e32 v0, 17, v18
	v_lshrrev_b16_e32 v23, 12, v2
	v_sub_u16_e32 v19, v42, v0
	v_mul_lo_u16_e32 v0, 17, v23
	v_add_u16_e32 v32, 0xaa, v42
	v_sub_u16_e32 v24, v1, v0
	v_mul_lo_u16_sdwa v0, v32, s2 dst_sel:DWORD dst_unused:UNUSED_PAD src0_sel:BYTE_0 src1_sel:DWORD
	v_lshrrev_b16_e32 v25, 12, v0
	v_mul_lo_u16_e32 v11, 17, v25
	s_mov_b32 s2, 0xf0f1
	v_mov_b32_e32 v8, 2
	v_sub_u16_e32 v26, v32, v11
	v_mul_u32_u24_sdwa v11, v4, s2 dst_sel:DWORD dst_unused:UNUSED_PAD src0_sel:WORD_0 src1_sel:DWORD
	v_lshlrev_b32_sdwa v9, v8, v19 dst_sel:DWORD dst_unused:UNUSED_PAD src0_sel:DWORD src1_sel:BYTE_0
	v_lshlrev_b32_sdwa v10, v8, v24 dst_sel:DWORD dst_unused:UNUSED_PAD src0_sel:DWORD src1_sel:BYTE_0
	;; [unrolled: 1-line block ×3, first 2 shown]
	v_lshrrev_b32_e32 v27, 20, v11
	s_waitcnt lgkmcnt(0)
	s_barrier
	global_load_dword v51, v9, s[14:15]
	global_load_dword v53, v8, s[14:15]
	v_mul_lo_u16_e32 v9, 17, v27
	v_sub_u16_e32 v28, v4, v9
	v_mul_u32_u24_sdwa v9, v5, s2 dst_sel:DWORD dst_unused:UNUSED_PAD src0_sel:WORD_0 src1_sel:DWORD
	v_lshrrev_b32_e32 v37, 20, v9
	v_mul_lo_u16_e32 v9, 17, v37
	global_load_dword v52, v10, s[14:15]
	v_sub_u16_e32 v38, v5, v9
	v_lshlrev_b32_e32 v4, 2, v28
	v_lshlrev_b32_e32 v5, 2, v38
	global_load_dword v54, v4, s[14:15]
	global_load_dword v55, v5, s[14:15]
	v_mul_u32_u24_sdwa v8, v6, s2 dst_sel:DWORD dst_unused:UNUSED_PAD src0_sel:WORD_0 src1_sel:DWORD
	v_lshrrev_b32_e32 v39, 20, v8
	v_mul_lo_u16_e32 v4, 17, v39
	v_sub_u16_e32 v40, v6, v4
	v_mul_u32_u24_sdwa v5, v7, s2 dst_sel:DWORD dst_unused:UNUSED_PAD src0_sel:WORD_0 src1_sel:DWORD
	v_lshlrev_b32_e32 v4, 2, v40
	v_lshrrev_b32_e32 v43, 20, v5
	global_load_dword v56, v4, s[14:15]
	v_mul_lo_u16_e32 v4, 17, v43
	v_sub_u16_e32 v49, v7, v4
	v_lshlrev_b32_e32 v4, 2, v49
	global_load_dword v57, v4, s[14:15]
	v_add_lshl_u32 v48, v29, v42, 2
	v_add_u32_e32 v50, 0x600, v48
	ds_read2_b32 v[6:7], v50 offset0:126 offset1:211
	v_add_u32_e32 v8, 0x800, v48
	ds_read2_b32 v[4:5], v48 offset1:85
	ds_read2_b32 v[8:9], v8 offset0:168 offset1:253
	ds_read2_b32 v[10:11], v48 offset0:170 offset1:255
	v_add_u32_e32 v12, 0xc00, v48
	s_waitcnt lgkmcnt(3)
	v_lshrrev_b32_e32 v34, 16, v7
	ds_read2_b32 v[12:13], v12 offset0:82 offset1:167
	s_waitcnt lgkmcnt(2)
	v_lshrrev_b32_e32 v36, 16, v8
	v_lshrrev_b32_e32 v59, 16, v9
	v_add_u32_e32 v65, 0xe00, v48
	ds_read2_b32 v[16:17], v65 offset0:124 offset1:209
	s_waitcnt lgkmcnt(1)
	v_lshrrev_b32_e32 v61, 16, v12
	v_lshrrev_b32_e32 v63, 16, v13
	v_add_u32_e32 v14, 0x400, v48
	ds_read2_b32 v[14:15], v14 offset0:84 offset1:169
	s_waitcnt lgkmcnt(1)
	v_lshrrev_b32_e32 v66, 16, v16
	v_lshrrev_b32_e32 v68, 16, v17
	;; [unrolled: 1-line block ×4, first 2 shown]
	s_waitcnt lgkmcnt(0)
	v_lshrrev_b32_e32 v64, 16, v15
	v_lshrrev_b32_e32 v58, 16, v10
	;; [unrolled: 1-line block ×3, first 2 shown]
	s_waitcnt vmcnt(0)
	s_barrier
	v_lshrrev_b32_e32 v60, 16, v11
	v_lshrrev_b32_e32 v62, 16, v14
	s_movk_i32 s2, 0x44
	v_cmp_gt_u16_e64 s[2:3], s2, v42
	v_mul_f16_sdwa v69, v34, v51 dst_sel:DWORD dst_unused:UNUSED_PAD src0_sel:DWORD src1_sel:WORD_1
	v_fma_f16 v69, v7, v51, -v69
	v_mul_f16_sdwa v7, v7, v51 dst_sel:DWORD dst_unused:UNUSED_PAD src0_sel:DWORD src1_sel:WORD_1
	v_fma_f16 v7, v34, v51, v7
	v_sub_f16_e32 v69, v4, v69
	v_sub_f16_e32 v7, v33, v7
	v_fma_f16 v4, v4, 2.0, -v69
	v_mul_f16_sdwa v34, v36, v52 dst_sel:DWORD dst_unused:UNUSED_PAD src0_sel:DWORD src1_sel:WORD_1
	v_fma_f16 v34, v8, v52, -v34
	v_mul_f16_sdwa v8, v8, v52 dst_sel:DWORD dst_unused:UNUSED_PAD src0_sel:DWORD src1_sel:WORD_1
	v_fma_f16 v8, v36, v52, v8
	v_mul_f16_sdwa v36, v59, v53 dst_sel:DWORD dst_unused:UNUSED_PAD src0_sel:DWORD src1_sel:WORD_1
	v_fma_f16 v36, v9, v53, -v36
	v_mul_f16_sdwa v9, v9, v53 dst_sel:DWORD dst_unused:UNUSED_PAD src0_sel:DWORD src1_sel:WORD_1
	v_fma_f16 v9, v59, v53, v9
	;; [unrolled: 4-line block ×6, first 2 shown]
	v_sub_f16_e32 v17, v6, v66
	v_sub_f16_e32 v71, v5, v34
	;; [unrolled: 1-line block ×3, first 2 shown]
	v_fma_f16 v16, v6, 2.0, -v17
	v_mul_lo_u16_e32 v6, 34, v18
	v_and_b32_e32 v6, 0xfe, v6
	v_fma_f16 v70, v33, 2.0, -v7
	v_sub_f16_e32 v9, v58, v9
	v_add_u32_sdwa v6, v6, v19 dst_sel:DWORD dst_unused:UNUSED_PAD src0_sel:DWORD src1_sel:BYTE_0
	v_fma_f16 v74, v58, 2.0, -v9
	v_add_lshl_u32 v58, v29, v6, 2
	v_pack_b32_f16 v4, v4, v70
	v_pack_b32_f16 v6, v69, v7
	v_sub_f16_e32 v8, v35, v8
	ds_write2_b32 v58, v4, v6 offset1:17
	v_mul_u32_u24_e32 v4, 34, v23
	v_fma_f16 v5, v5, 2.0, -v71
	v_fma_f16 v72, v35, 2.0, -v8
	v_add_u32_sdwa v4, v4, v24 dst_sel:DWORD dst_unused:UNUSED_PAD src0_sel:DWORD src1_sel:BYTE_0
	v_sub_f16_e32 v75, v11, v59
	v_add_lshl_u32 v59, v29, v4, 2
	v_pack_b32_f16 v4, v5, v72
	v_pack_b32_f16 v5, v71, v8
	v_sub_f16_e32 v73, v10, v36
	ds_write2_b32 v59, v4, v5 offset1:17
	v_mul_u32_u24_e32 v4, 34, v25
	v_fma_f16 v10, v10, 2.0, -v73
	v_sub_f16_e32 v76, v60, v12
	v_add_u32_sdwa v4, v4, v26 dst_sel:DWORD dst_unused:UNUSED_PAD src0_sel:DWORD src1_sel:BYTE_0
	v_fma_f16 v77, v60, 2.0, -v76
	v_add_lshl_u32 v60, v29, v4, 2
	v_pack_b32_f16 v4, v10, v74
	v_pack_b32_f16 v5, v73, v9
	v_fma_f16 v11, v11, 2.0, -v75
	ds_write2_b32 v60, v4, v5 offset1:17
	v_mad_legacy_u16 v4, v27, 34, v28
	v_sub_f16_e32 v78, v14, v61
	v_sub_f16_e32 v79, v62, v13
	v_add_lshl_u32 v61, v29, v4, 2
	v_pack_b32_f16 v4, v11, v77
	v_pack_b32_f16 v5, v75, v76
	v_fma_f16 v14, v14, 2.0, -v78
	v_fma_f16 v80, v62, 2.0, -v79
	ds_write2_b32 v61, v4, v5 offset1:17
	v_mad_legacy_u16 v4, v37, 34, v38
	v_sub_f16_e32 v13, v15, v63
	v_add_lshl_u32 v62, v29, v4, 2
	v_pack_b32_f16 v4, v14, v80
	v_pack_b32_f16 v5, v78, v79
	v_fma_f16 v12, v15, 2.0, -v13
	v_fma_f16 v33, v64, 2.0, -v34
	ds_write2_b32 v62, v4, v5 offset1:17
	v_mad_legacy_u16 v4, v39, 34, v40
	v_sub_f16_e32 v35, v67, v68
	v_add_lshl_u32 v63, v29, v4, 2
	v_pack_b32_f16 v4, v12, v33
	v_pack_b32_f16 v5, v13, v34
	v_fma_f16 v36, v67, 2.0, -v35
	ds_write2_b32 v63, v4, v5 offset1:17
	v_mad_legacy_u16 v4, v43, 34, v49
	v_add_lshl_u32 v64, v29, v4, 2
	v_pack_b32_f16 v4, v16, v36
	v_pack_b32_f16 v5, v17, v35
	ds_write2_b32 v64, v4, v5 offset1:17
	v_add_u32_e32 v4, 0x200, v48
	s_waitcnt lgkmcnt(0)
	s_barrier
	ds_read2_b32 v[14:15], v48 offset1:85
	ds_read2_b32 v[18:19], v4 offset0:110 offset1:195
	ds_read2_b32 v[23:24], v50 offset0:92 offset1:177
	v_add_u32_e32 v4, 0xa00, v48
	ds_read2_b32 v[25:26], v4 offset0:74 offset1:159
	ds_read2_b32 v[27:28], v65 offset0:56 offset1:141
	s_and_saveexec_b64 s[4:5], s[2:3]
	s_cbranch_execz .LBB0_9
; %bb.8:
	v_add_u32_e32 v5, 0x280, v48
	ds_read2_b32 v[16:17], v4 offset0:6 offset1:244
	ds_read2_b32 v[12:13], v5 offset0:10 offset1:248
	ds_read_b32 v30, v48 offset:4488
	s_waitcnt lgkmcnt(2)
	v_lshrrev_b32_e32 v36, 16, v16
	s_waitcnt lgkmcnt(1)
	v_lshrrev_b32_e32 v33, 16, v12
	v_lshrrev_b32_e32 v34, 16, v13
	;; [unrolled: 1-line block ×3, first 2 shown]
	s_waitcnt lgkmcnt(0)
	v_lshrrev_b32_e32 v31, 16, v30
.LBB0_9:
	s_or_b64 exec, exec, s[4:5]
	v_lshrrev_b16_e32 v37, 13, v3
	v_mul_lo_u16_e32 v3, 34, v37
	v_lshrrev_b16_e32 v39, 13, v2
	v_lshrrev_b16_e32 v49, 13, v0
	v_sub_u16_e32 v38, v42, v3
	v_mov_b32_e32 v3, 4
	v_mul_lo_u16_e32 v2, 34, v39
	v_mul_lo_u16_e32 v0, 34, v49
	v_lshlrev_b32_sdwa v4, v3, v38 dst_sel:DWORD dst_unused:UNUSED_PAD src0_sel:DWORD src1_sel:BYTE_0
	v_sub_u16_e32 v40, v1, v2
	v_sub_u16_e32 v50, v32, v0
	global_load_dwordx4 v[4:7], v4, s[14:15] offset:68
	v_lshlrev_b32_sdwa v1, v3, v40 dst_sel:DWORD dst_unused:UNUSED_PAD src0_sel:DWORD src1_sel:BYTE_0
	v_lshlrev_b32_sdwa v0, v3, v50 dst_sel:DWORD dst_unused:UNUSED_PAD src0_sel:DWORD src1_sel:BYTE_0
	global_load_dwordx4 v[8:11], v1, s[14:15] offset:68
	s_waitcnt lgkmcnt(3)
	v_lshrrev_b32_e32 v65, 16, v18
	global_load_dwordx4 v[0:3], v0, s[14:15] offset:68
	s_waitcnt lgkmcnt(2)
	v_lshrrev_b32_e32 v66, 16, v23
	s_waitcnt lgkmcnt(1)
	v_lshrrev_b32_e32 v67, 16, v25
	;; [unrolled: 2-line block ×3, first 2 shown]
	v_lshrrev_b32_e32 v70, 16, v19
	v_lshrrev_b32_e32 v71, 16, v24
	s_movk_i32 s17, 0x3b9c
	s_movk_i32 s16, 0x38b4
	s_movk_i32 s18, 0x34f2
	s_mov_b32 s19, 0xbb9c
	s_mov_b32 s20, 0xb8b4
	v_lshrrev_b32_e32 v43, 16, v14
	v_lshrrev_b32_e32 v72, 16, v26
	;; [unrolled: 1-line block ×4, first 2 shown]
	v_mul_u32_u24_e32 v37, 0xaa, v37
	v_add_u32_sdwa v37, v37, v38 dst_sel:DWORD dst_unused:UNUSED_PAD src0_sel:DWORD src1_sel:BYTE_0
	s_waitcnt vmcnt(0)
	s_barrier
	v_mul_f16_sdwa v74, v65, v4 dst_sel:DWORD dst_unused:UNUSED_PAD src0_sel:DWORD src1_sel:WORD_1
	v_mul_f16_sdwa v75, v18, v4 dst_sel:DWORD dst_unused:UNUSED_PAD src0_sel:DWORD src1_sel:WORD_1
	;; [unrolled: 1-line block ×8, first 2 shown]
	v_fma_f16 v74, v18, v4, -v74
	v_fma_f16 v65, v65, v4, v75
	v_fma_f16 v75, v23, v5, -v76
	v_fma_f16 v76, v25, v6, -v78
	v_mul_f16_sdwa v77, v23, v5 dst_sel:DWORD dst_unused:UNUSED_PAD src0_sel:DWORD src1_sel:WORD_1
	v_mul_f16_sdwa v79, v25, v6 dst_sel:DWORD dst_unused:UNUSED_PAD src0_sel:DWORD src1_sel:WORD_1
	;; [unrolled: 1-line block ×5, first 2 shown]
	v_fma_f16 v27, v27, v7, -v80
	v_fma_f16 v68, v68, v7, v81
	v_fma_f16 v18, v30, v3, -v96
	v_fma_f16 v25, v31, v3, v97
	v_add_f16_e32 v30, v14, v74
	v_add_f16_e32 v31, v75, v76
	v_mul_f16_sdwa v83, v19, v8 dst_sel:DWORD dst_unused:UNUSED_PAD src0_sel:DWORD src1_sel:WORD_1
	v_mul_f16_sdwa v84, v71, v9 dst_sel:DWORD dst_unused:UNUSED_PAD src0_sel:DWORD src1_sel:WORD_1
	;; [unrolled: 1-line block ×5, first 2 shown]
	v_fma_f16 v66, v66, v5, v77
	v_fma_f16 v67, v67, v6, v79
	v_fma_f16 v77, v19, v8, -v82
	v_fma_f16 v19, v34, v0, v91
	v_fma_f16 v23, v36, v1, v93
	v_sub_f16_e32 v34, v65, v68
	v_sub_f16_e32 v36, v74, v75
	;; [unrolled: 1-line block ×3, first 2 shown]
	v_add_f16_e32 v30, v30, v75
	v_fma_f16 v31, v31, -0.5, v14
	v_mul_f16_sdwa v85, v24, v9 dst_sel:DWORD dst_unused:UNUSED_PAD src0_sel:DWORD src1_sel:WORD_1
	v_mul_f16_sdwa v94, v35, v2 dst_sel:DWORD dst_unused:UNUSED_PAD src0_sel:DWORD src1_sel:WORD_1
	v_fma_f16 v78, v24, v9, -v84
	v_fma_f16 v24, v35, v2, v95
	v_sub_f16_e32 v35, v66, v67
	v_add_f16_e32 v36, v36, v79
	v_add_f16_e32 v30, v30, v76
	v_fma_f16 v79, v34, s17, v31
	v_add_f16_e32 v80, v30, v27
	v_fma_f16 v30, v35, s16, v79
	v_fma_f16 v79, v36, s18, v30
	;; [unrolled: 1-line block ×5, first 2 shown]
	v_add_f16_e32 v30, v74, v27
	v_fma_f16 v14, v30, -0.5, v14
	v_fma_f16 v30, v35, s19, v14
	v_sub_f16_e32 v31, v75, v74
	v_sub_f16_e32 v81, v76, v27
	v_fma_f16 v14, v35, s17, v14
	v_add_f16_e32 v31, v31, v81
	v_fma_f16 v14, v34, s20, v14
	v_fma_f16 v82, v31, s18, v14
	v_add_f16_e32 v14, v43, v65
	v_add_f16_e32 v14, v14, v66
	;; [unrolled: 1-line block ×3, first 2 shown]
	v_fma_f16 v70, v70, v8, v83
	v_add_f16_e32 v83, v14, v68
	v_add_f16_e32 v14, v66, v67
	v_fma_f16 v30, v34, s16, v30
	v_fma_f16 v14, v14, -0.5, v43
	v_sub_f16_e32 v27, v74, v27
	v_fma_f16 v81, v31, s18, v30
	v_fma_f16 v30, v27, s19, v14
	v_sub_f16_e32 v31, v75, v76
	v_sub_f16_e32 v34, v65, v66
	;; [unrolled: 1-line block ×3, first 2 shown]
	v_fma_f16 v14, v27, s17, v14
	v_add_f16_e32 v34, v34, v35
	v_fma_f16 v14, v31, s16, v14
	v_fma_f16 v75, v34, s18, v14
	v_add_f16_e32 v14, v65, v68
	v_fma_f16 v30, v31, s20, v30
	v_fma_f16 v14, v14, -0.5, v43
	v_fma_f16 v74, v34, s18, v30
	v_fma_f16 v30, v31, s17, v14
	v_sub_f16_e32 v34, v66, v65
	v_sub_f16_e32 v35, v67, v68
	v_fma_f16 v14, v31, s19, v14
	v_add_f16_e32 v34, v34, v35
	v_fma_f16 v14, v27, s16, v14
	v_mul_f16_sdwa v86, v72, v10 dst_sel:DWORD dst_unused:UNUSED_PAD src0_sel:DWORD src1_sel:WORD_1
	v_fma_f16 v66, v34, s18, v14
	v_add_f16_e32 v14, v15, v77
	v_mul_f16_sdwa v87, v26, v10 dst_sel:DWORD dst_unused:UNUSED_PAD src0_sel:DWORD src1_sel:WORD_1
	v_mul_f16_sdwa v88, v73, v11 dst_sel:DWORD dst_unused:UNUSED_PAD src0_sel:DWORD src1_sel:WORD_1
	v_fma_f16 v26, v26, v10, -v86
	v_add_f16_e32 v14, v14, v78
	v_mul_f16_sdwa v89, v28, v11 dst_sel:DWORD dst_unused:UNUSED_PAD src0_sel:DWORD src1_sel:WORD_1
	v_fma_f16 v28, v28, v11, -v88
	v_add_f16_e32 v14, v14, v26
	v_fma_f16 v73, v73, v11, v89
	v_add_f16_e32 v68, v14, v28
	v_add_f16_e32 v14, v78, v26
	v_fma_f16 v71, v71, v9, v85
	v_fma_f16 v72, v72, v10, v87
	;; [unrolled: 1-line block ×3, first 2 shown]
	v_fma_f16 v14, v14, -0.5, v15
	v_sub_f16_e32 v27, v70, v73
	v_fma_f16 v43, v34, s18, v30
	v_fma_f16 v30, v27, s17, v14
	v_sub_f16_e32 v31, v71, v72
	v_sub_f16_e32 v34, v77, v78
	;; [unrolled: 1-line block ×3, first 2 shown]
	v_fma_f16 v14, v27, s19, v14
	v_add_f16_e32 v34, v34, v35
	v_fma_f16 v14, v31, s20, v14
	v_fma_f16 v84, v34, s18, v14
	v_add_f16_e32 v14, v77, v28
	v_fma_f16 v30, v31, s16, v30
	v_fma_f16 v14, v14, -0.5, v15
	v_fma_f16 v76, v34, s18, v30
	v_fma_f16 v15, v31, s19, v14
	v_sub_f16_e32 v30, v78, v77
	v_sub_f16_e32 v34, v26, v28
	v_fma_f16 v14, v31, s17, v14
	v_add_f16_e32 v30, v30, v34
	v_fma_f16 v14, v27, s20, v14
	v_fma_f16 v86, v30, s18, v14
	v_add_f16_e32 v14, v69, v70
	v_add_f16_e32 v14, v14, v71
	v_add_f16_e32 v14, v14, v72
	v_fma_f16 v15, v27, s16, v15
	v_add_f16_e32 v87, v14, v73
	v_add_f16_e32 v14, v71, v72
	v_fma_f16 v85, v30, s18, v15
	v_fma_f16 v14, v14, -0.5, v69
	v_sub_f16_e32 v15, v77, v28
	v_fma_f16 v27, v15, s19, v14
	v_sub_f16_e32 v26, v78, v26
	v_sub_f16_e32 v28, v70, v71
	;; [unrolled: 1-line block ×3, first 2 shown]
	v_fma_f16 v14, v15, s17, v14
	v_add_f16_e32 v28, v28, v30
	v_fma_f16 v14, v26, s16, v14
	v_fma_f16 v78, v28, s18, v14
	v_add_f16_e32 v14, v70, v73
	v_fma_f16 v27, v26, s20, v27
	v_fma_f16 v14, v14, -0.5, v69
	v_fma_f16 v77, v28, s18, v27
	v_fma_f16 v27, v26, s17, v14
	v_sub_f16_e32 v28, v71, v70
	v_sub_f16_e32 v30, v72, v73
	v_fma_f16 v14, v26, s19, v14
	v_fma_f16 v16, v16, v1, -v92
	v_fma_f16 v17, v17, v2, -v94
	v_add_f16_e32 v28, v28, v30
	v_fma_f16 v14, v15, s16, v14
	v_fma_f16 v13, v13, v0, -v90
	v_fma_f16 v27, v15, s20, v27
	v_fma_f16 v70, v28, s18, v14
	v_add_f16_e32 v14, v16, v17
	v_fma_f16 v69, v28, s18, v27
	v_fma_f16 v14, v14, -0.5, v12
	v_sub_f16_e32 v15, v19, v25
	v_sub_f16_e32 v27, v13, v16
	;; [unrolled: 1-line block ×4, first 2 shown]
	v_add_f16_e32 v34, v27, v28
	v_fma_f16 v27, v15, s19, v14
	v_fma_f16 v27, v26, s20, v27
	;; [unrolled: 1-line block ×3, first 2 shown]
	v_add_f16_e32 v27, v23, v24
	v_fma_f16 v27, v27, -0.5, v33
	v_sub_f16_e32 v30, v13, v18
	v_sub_f16_e32 v35, v19, v23
	;; [unrolled: 1-line block ×4, first 2 shown]
	v_add_f16_e32 v35, v35, v65
	v_fma_f16 v65, v30, s17, v27
	v_fma_f16 v65, v31, s16, v65
	;; [unrolled: 1-line block ×3, first 2 shown]
	v_add_lshl_u32 v65, v29, v37, 2
	v_pack_b32_f16 v36, v36, v75
	v_pack_b32_f16 v37, v80, v83
	;; [unrolled: 1-line block ×3, first 2 shown]
	ds_write_b32 v65, v36 offset:544
	v_mul_u32_u24_e32 v36, 0xaa, v39
	ds_write2_b32 v65, v37, v38 offset1:34
	v_pack_b32_f16 v37, v81, v43
	v_pack_b32_f16 v38, v82, v66
	v_add_u32_sdwa v36, v36, v40 dst_sel:DWORD dst_unused:UNUSED_PAD src0_sel:DWORD src1_sel:BYTE_0
	ds_write2_b32 v65, v37, v38 offset0:68 offset1:102
	v_add_lshl_u32 v66, v29, v36, 2
	v_pack_b32_f16 v36, v68, v87
	v_pack_b32_f16 v37, v76, v77
	ds_write2_b32 v66, v36, v37 offset1:34
	v_pack_b32_f16 v36, v85, v69
	v_pack_b32_f16 v37, v86, v70
	ds_write2_b32 v66, v36, v37 offset0:68 offset1:102
	v_pack_b32_f16 v36, v84, v78
	ds_write_b32 v66, v36 offset:544
	s_and_saveexec_b64 s[4:5], s[2:3]
	s_cbranch_execz .LBB0_11
; %bb.10:
	v_sub_f16_e32 v40, v23, v19
	v_sub_f16_e32 v43, v24, v25
	;; [unrolled: 1-line block ×4, first 2 shown]
	v_add_f16_e32 v40, v40, v43
	v_add_f16_e32 v43, v19, v25
	;; [unrolled: 1-line block ×4, first 2 shown]
	v_fma_f16 v43, v43, -0.5, v33
	v_fma_f16 v70, v70, -0.5, v12
	v_mul_f16_e32 v37, 0x38b4, v26
	v_fma_f16 v68, v31, s19, v43
	v_fma_f16 v71, v26, s17, v70
	;; [unrolled: 1-line block ×3, first 2 shown]
	v_mul_f16_e32 v36, 0x3b9c, v15
	v_fma_f16 v68, v30, s16, v68
	v_fma_f16 v71, v15, s20, v71
	;; [unrolled: 1-line block ×3, first 2 shown]
	s_movk_i32 s16, 0xf1
	v_mul_f16_e32 v38, 0x3b9c, v30
	v_add_f16_e32 v19, v33, v19
	v_add_f16_e32 v12, v12, v13
	v_mul_lo_u16_sdwa v13, v32, s16 dst_sel:DWORD dst_unused:UNUSED_PAD src0_sel:BYTE_0 src1_sel:DWORD
	v_mul_f16_e32 v39, 0x38b4, v31
	v_sub_f16_e32 v26, v27, v38
	v_add_f16_e32 v14, v14, v36
	v_add_f16_e32 v19, v19, v23
	;; [unrolled: 1-line block ×3, first 2 shown]
	v_lshrrev_b16_e32 v13, 13, v13
	v_mul_f16_e32 v34, 0x34f2, v34
	v_mul_f16_e32 v35, 0x34f2, v35
	v_fma_f16 v31, v31, s17, v43
	v_sub_f16_e32 v26, v26, v39
	v_add_f16_e32 v14, v37, v14
	v_add_f16_e32 v19, v19, v24
	;; [unrolled: 1-line block ×3, first 2 shown]
	v_mul_u32_u24_e32 v13, 0xaa, v13
	v_fma_f16 v30, v30, s20, v31
	v_add_f16_e32 v26, v35, v26
	v_add_f16_e32 v14, v34, v14
	v_add_f16_e32 v19, v19, v25
	v_add_f16_e32 v12, v12, v18
	v_add_u32_sdwa v13, v13, v50 dst_sel:DWORD dst_unused:UNUSED_PAD src0_sel:DWORD src1_sel:BYTE_0
	v_fma_f16 v68, v40, s18, v68
	v_fma_f16 v71, v69, s18, v71
	;; [unrolled: 1-line block ×4, first 2 shown]
	v_add_lshl_u32 v13, v29, v13, 2
	v_pack_b32_f16 v12, v12, v19
	v_pack_b32_f16 v14, v14, v26
	ds_write2_b32 v13, v12, v14 offset1:34
	v_pack_b32_f16 v12, v15, v30
	v_pack_b32_f16 v14, v71, v68
	s_mov_b32 s16, 0x5040100
	ds_write2_b32 v13, v12, v14 offset0:68 offset1:102
	v_perm_b32 v12, v67, v28, s16
	ds_write_b32 v13, v12 offset:544
.LBB0_11:
	s_or_b64 exec, exec, s[4:5]
	v_mad_u64_u32 v[29:30], s[4:5], v42, 24, s[14:15]
	s_waitcnt lgkmcnt(0)
	s_barrier
	global_load_dwordx4 v[12:15], v[29:30], off offset:612
	global_load_dwordx2 v[23:24], v[29:30], off offset:628
	global_load_dwordx4 v[16:19], v[29:30], off offset:2652
	global_load_dwordx2 v[25:26], v[29:30], off offset:2668
	v_add_u32_e32 v27, 0x400, v48
	v_add_u32_e32 v33, 0x600, v48
	;; [unrolled: 1-line block ×4, first 2 shown]
	ds_read2_b32 v[35:36], v48 offset1:85
	ds_read2_b32 v[29:30], v48 offset0:170 offset1:255
	v_add_u32_e32 v43, 0xe00, v48
	ds_read2_b32 v[31:32], v27 offset0:84 offset1:169
	ds_read2_b32 v[33:34], v33 offset0:126 offset1:211
	;; [unrolled: 1-line block ×5, first 2 shown]
	s_waitcnt lgkmcnt(4)
	v_lshrrev_b32_e32 v70, 16, v31
	s_waitcnt lgkmcnt(3)
	v_lshrrev_b32_e32 v71, 16, v33
	v_lshrrev_b32_e32 v27, 16, v29
	s_waitcnt lgkmcnt(1)
	v_lshrrev_b32_e32 v73, 16, v39
	s_waitcnt lgkmcnt(0)
	v_lshrrev_b32_e32 v74, 16, v68
	v_lshrrev_b32_e32 v43, 16, v30
	;; [unrolled: 1-line block ×7, first 2 shown]
	s_movk_i32 s4, 0x2b26
	s_movk_i32 s5, 0x3b00
	s_mov_b32 s14, 0xbcab
	s_movk_i32 s15, 0x39e0
	s_mov_b32 s16, 0xb9e0
	;; [unrolled: 2-line block ×3, first 2 shown]
	v_lshrrev_b32_e32 v77, 16, v38
	s_movk_i32 s19, 0x370e
	s_waitcnt vmcnt(3)
	v_mul_f16_sdwa v80, v27, v12 dst_sel:DWORD dst_unused:UNUSED_PAD src0_sel:DWORD src1_sel:WORD_1
	v_mul_f16_sdwa v81, v29, v12 dst_sel:DWORD dst_unused:UNUSED_PAD src0_sel:DWORD src1_sel:WORD_1
	;; [unrolled: 1-line block ×4, first 2 shown]
	s_waitcnt vmcnt(2)
	v_mul_f16_sdwa v88, v73, v23 dst_sel:DWORD dst_unused:UNUSED_PAD src0_sel:DWORD src1_sel:WORD_1
	v_mul_f16_sdwa v89, v39, v23 dst_sel:DWORD dst_unused:UNUSED_PAD src0_sel:DWORD src1_sel:WORD_1
	;; [unrolled: 1-line block ×8, first 2 shown]
	s_waitcnt vmcnt(1)
	v_mul_f16_sdwa v92, v43, v16 dst_sel:DWORD dst_unused:UNUSED_PAD src0_sel:DWORD src1_sel:WORD_1
	v_mul_f16_sdwa v94, v75, v17 dst_sel:DWORD dst_unused:UNUSED_PAD src0_sel:DWORD src1_sel:WORD_1
	;; [unrolled: 1-line block ×3, first 2 shown]
	v_fma_f16 v29, v29, v12, -v80
	v_fma_f16 v27, v27, v12, v81
	v_fma_f16 v31, v31, v13, -v82
	v_fma_f16 v70, v70, v13, v83
	;; [unrolled: 2-line block ×4, first 2 shown]
	v_mul_f16_sdwa v93, v30, v16 dst_sel:DWORD dst_unused:UNUSED_PAD src0_sel:DWORD src1_sel:WORD_1
	v_mul_f16_sdwa v95, v32, v17 dst_sel:DWORD dst_unused:UNUSED_PAD src0_sel:DWORD src1_sel:WORD_1
	;; [unrolled: 1-line block ×3, first 2 shown]
	s_waitcnt vmcnt(0)
	v_mul_f16_sdwa v102, v79, v26 dst_sel:DWORD dst_unused:UNUSED_PAD src0_sel:DWORD src1_sel:WORD_1
	v_fma_f16 v33, v33, v14, -v84
	v_fma_f16 v71, v71, v14, v85
	v_fma_f16 v37, v37, v15, -v86
	v_fma_f16 v72, v72, v15, v87
	v_fma_f16 v80, v30, v16, -v92
	v_fma_f16 v81, v32, v17, -v94
	;; [unrolled: 1-line block ×3, first 2 shown]
	v_add_f16_e32 v30, v29, v68
	v_add_f16_e32 v32, v27, v74
	v_sub_f16_e32 v29, v29, v68
	v_add_f16_e32 v34, v31, v39
	v_add_f16_e32 v68, v70, v73
	v_mul_f16_sdwa v103, v69, v26 dst_sel:DWORD dst_unused:UNUSED_PAD src0_sel:DWORD src1_sel:WORD_1
	v_fma_f16 v84, v69, v26, -v102
	v_sub_f16_e32 v27, v27, v74
	v_sub_f16_e32 v31, v31, v39
	;; [unrolled: 1-line block ×3, first 2 shown]
	v_add_f16_e32 v69, v33, v37
	v_add_f16_e32 v70, v71, v72
	v_sub_f16_e32 v33, v37, v33
	v_sub_f16_e32 v37, v72, v71
	v_add_f16_e32 v71, v34, v30
	v_add_f16_e32 v72, v68, v32
	v_fma_f16 v82, v75, v17, v95
	v_sub_f16_e32 v73, v34, v30
	v_sub_f16_e32 v74, v68, v32
	;; [unrolled: 1-line block ×6, first 2 shown]
	v_add_f16_e32 v68, v33, v31
	v_add_f16_e32 v85, v37, v39
	v_sub_f16_e32 v86, v33, v31
	v_sub_f16_e32 v87, v37, v39
	;; [unrolled: 1-line block ×4, first 2 shown]
	v_add_f16_e32 v71, v69, v71
	v_add_f16_e32 v70, v70, v72
	v_sub_f16_e32 v33, v29, v33
	v_sub_f16_e32 v37, v27, v37
	v_add_f16_e32 v29, v68, v29
	v_add_f16_e32 v27, v85, v27
	;; [unrolled: 1-line block ×3, first 2 shown]
	v_add_f16_sdwa v69, v35, v70 dst_sel:DWORD dst_unused:UNUSED_PAD src0_sel:WORD_1 src1_sel:DWORD
	v_mul_f16_e32 v30, 0x3a52, v30
	v_mul_f16_e32 v32, 0x3a52, v32
	;; [unrolled: 1-line block ×8, first 2 shown]
	v_mul_f16_sdwa v100, v78, v25 dst_sel:DWORD dst_unused:UNUSED_PAD src0_sel:DWORD src1_sel:WORD_1
	v_mul_f16_sdwa v101, v40, v25 dst_sel:DWORD dst_unused:UNUSED_PAD src0_sel:DWORD src1_sel:WORD_1
	v_fma_f16 v71, v71, s14, v68
	v_fma_f16 v70, v70, s14, v69
	;; [unrolled: 1-line block ×4, first 2 shown]
	v_fma_f16 v35, v73, s15, -v35
	v_fma_f16 v72, v74, s15, -v72
	;; [unrolled: 1-line block ×4, first 2 shown]
	v_fma_f16 v73, v33, s17, v85
	v_fma_f16 v74, v37, s17, v86
	v_fma_f16 v39, v39, s5, -v86
	v_fma_f16 v33, v33, s18, -v87
	;; [unrolled: 1-line block ×3, first 2 shown]
	v_mul_f16_sdwa v98, v77, v19 dst_sel:DWORD dst_unused:UNUSED_PAD src0_sel:DWORD src1_sel:WORD_1
	v_mul_f16_sdwa v99, v38, v19 dst_sel:DWORD dst_unused:UNUSED_PAD src0_sel:DWORD src1_sel:WORD_1
	v_fma_f16 v43, v43, v16, v93
	v_fma_f16 v40, v40, v25, -v100
	v_fma_f16 v78, v78, v25, v101
	v_fma_f16 v79, v79, v26, v103
	v_fma_f16 v31, v31, s5, -v85
	v_add_f16_e32 v35, v35, v71
	v_add_f16_e32 v86, v30, v71
	;; [unrolled: 1-line block ×3, first 2 shown]
	v_fma_f16 v89, v27, s19, v74
	v_fma_f16 v32, v27, s19, v39
	;; [unrolled: 1-line block ×5, first 2 shown]
	v_fma_f16 v38, v38, v19, -v98
	v_fma_f16 v77, v77, v19, v99
	v_add_f16_e32 v34, v34, v71
	v_fma_f16 v88, v29, s19, v73
	v_fma_f16 v73, v29, s19, v31
	v_add_f16_e32 v30, v27, v86
	v_sub_f16_e32 v71, v87, v39
	v_sub_f16_e32 v31, v35, v32
	v_add_f16_e32 v32, v32, v35
	v_sub_f16_e32 v33, v86, v27
	v_add_f16_e32 v74, v39, v87
	v_add_f16_e32 v27, v80, v84
	;; [unrolled: 1-line block ×3, first 2 shown]
	v_sub_f16_e32 v39, v43, v79
	v_add_f16_e32 v43, v81, v40
	v_add_f16_e32 v79, v82, v78
	;; [unrolled: 1-line block ×4, first 2 shown]
	v_sub_f16_e32 v37, v80, v84
	v_sub_f16_e32 v40, v81, v40
	;; [unrolled: 1-line block ×3, first 2 shown]
	v_add_f16_e32 v80, v83, v38
	v_add_f16_e32 v81, v76, v77
	v_sub_f16_e32 v38, v38, v83
	v_sub_f16_e32 v76, v77, v76
	v_add_f16_e32 v77, v43, v27
	v_add_f16_e32 v82, v79, v35
	v_sub_f16_e32 v70, v75, v88
	v_add_f16_e32 v72, v73, v85
	v_sub_f16_e32 v73, v85, v73
	;; [unrolled: 2-line block ×3, first 2 shown]
	v_sub_f16_e32 v84, v79, v35
	v_sub_f16_e32 v27, v27, v80
	;; [unrolled: 1-line block ×5, first 2 shown]
	v_add_f16_e32 v35, v38, v40
	v_add_f16_e32 v86, v76, v78
	v_sub_f16_e32 v87, v38, v40
	v_sub_f16_e32 v88, v76, v78
	;; [unrolled: 1-line block ×3, first 2 shown]
	v_add_f16_e32 v77, v80, v77
	v_add_f16_e32 v80, v81, v82
	;; [unrolled: 1-line block ×3, first 2 shown]
	v_sub_f16_e32 v34, v34, v89
	v_sub_f16_e32 v38, v37, v38
	;; [unrolled: 1-line block ×4, first 2 shown]
	v_add_f16_e32 v37, v35, v37
	v_add_f16_e32 v39, v86, v39
	;; [unrolled: 1-line block ×3, first 2 shown]
	v_add_f16_sdwa v76, v36, v80 dst_sel:DWORD dst_unused:UNUSED_PAD src0_sel:WORD_1 src1_sel:DWORD
	v_mul_f16_e32 v27, 0x3a52, v27
	v_mul_f16_e32 v36, 0x3a52, v85
	;; [unrolled: 1-line block ×8, first 2 shown]
	v_fma_f16 v77, v77, s14, v35
	v_fma_f16 v80, v80, s14, v76
	;; [unrolled: 1-line block ×4, first 2 shown]
	v_fma_f16 v81, v83, s15, -v81
	v_fma_f16 v82, v84, s15, -v82
	;; [unrolled: 1-line block ×4, first 2 shown]
	v_fma_f16 v83, v38, s17, v85
	v_fma_f16 v84, v89, s17, v86
	v_fma_f16 v40, v40, s5, -v85
	v_fma_f16 v78, v78, s5, -v86
	;; [unrolled: 1-line block ×4, first 2 shown]
	v_add_f16_e32 v43, v43, v77
	v_add_f16_e32 v86, v79, v80
	v_add_f16_e32 v81, v81, v77
	v_add_f16_e32 v82, v82, v80
	v_add_f16_e32 v27, v27, v77
	v_add_f16_e32 v87, v36, v80
	v_fma_f16 v83, v37, s19, v83
	v_fma_f16 v84, v39, s19, v84
	;; [unrolled: 1-line block ×6, first 2 shown]
	v_add_f16_e32 v36, v84, v43
	v_sub_f16_e32 v77, v86, v83
	v_add_f16_e32 v37, v85, v27
	v_sub_f16_e32 v38, v81, v80
	v_add_f16_e32 v79, v40, v82
	v_add_f16_e32 v39, v80, v81
	v_sub_f16_e32 v80, v82, v40
	v_sub_f16_e32 v40, v27, v85
	;; [unrolled: 1-line block ×3, first 2 shown]
	v_add_f16_e32 v82, v83, v86
	v_lshl_add_u32 v43, v42, 2, v44
	v_pack_b32_f16 v83, v68, v69
	ds_write_b32 v43, v83
	v_pack_b32_f16 v83, v29, v70
	v_pack_b32_f16 v85, v35, v76
	v_sub_f16_e32 v78, v87, v88
	v_pack_b32_f16 v84, v30, v71
	ds_write2_b32 v43, v85, v83 offset0:85 offset1:170
	v_pack_b32_f16 v83, v36, v77
	v_add_u32_e32 v85, 0x200, v43
	v_add_f16_e32 v81, v88, v87
	v_pack_b32_f16 v87, v31, v72
	ds_write2_b32 v85, v83, v84 offset0:127 offset1:212
	v_pack_b32_f16 v83, v37, v78
	v_add_u32_e32 v86, 0x400, v43
	v_pack_b32_f16 v88, v32, v73
	ds_write2_b32 v86, v83, v87 offset0:169 offset1:254
	v_pack_b32_f16 v83, v38, v79
	v_add_u32_e32 v84, 0x800, v43
	;; [unrolled: 4-line block ×4, first 2 shown]
	ds_write2_b32 v83, v87, v90 offset0:167 offset1:252
	v_pack_b32_f16 v87, v27, v82
	ds_write_b32 v43, v87 offset:4420
	s_waitcnt lgkmcnt(0)
	s_barrier
	s_and_saveexec_b64 s[4:5], s[0:1]
	s_cbranch_execz .LBB0_13
; %bb.12:
	v_mov_b32_e32 v87, s7
	v_add_co_u32_e32 v91, vcc, s6, v41
	v_addc_co_u32_e32 v92, vcc, 0, v87, vcc
	v_add_co_u32_e32 v87, vcc, 0x1298, v91
	v_addc_co_u32_e32 v88, vcc, 0, v92, vcc
	v_add_co_u32_e32 v89, vcc, 0x1000, v91
	v_addc_co_u32_e32 v90, vcc, 0, v92, vcc
	global_load_dword v93, v[89:90], off offset:664
	global_load_dword v95, v[87:88], off offset:280
	;; [unrolled: 1-line block ×11, first 2 shown]
	s_movk_i32 s14, 0x2000
	v_add_co_u32_e32 v89, vcc, s14, v91
	ds_read_b32 v94, v43
	v_addc_co_u32_e32 v90, vcc, 0, v92, vcc
	global_load_dword v106, v[87:88], off offset:3080
	global_load_dword v107, v[87:88], off offset:3360
	;; [unrolled: 1-line block ×6, first 2 shown]
	s_waitcnt lgkmcnt(0)
	v_lshrrev_b32_e32 v87, 16, v94
	v_add_u32_e32 v104, 0x600, v43
	s_waitcnt vmcnt(16)
	v_mul_f16_sdwa v88, v87, v93 dst_sel:DWORD dst_unused:UNUSED_PAD src0_sel:DWORD src1_sel:WORD_1
	v_mul_f16_sdwa v91, v94, v93 dst_sel:DWORD dst_unused:UNUSED_PAD src0_sel:DWORD src1_sel:WORD_1
	v_fma_f16 v88, v94, v93, -v88
	v_fma_f16 v87, v87, v93, v91
	v_pack_b32_f16 v87, v88, v87
	ds_write_b32 v43, v87
	ds_read2_b32 v[87:88], v43 offset0:70 offset1:140
	ds_read2_b32 v[89:90], v85 offset0:82 offset1:152
	;; [unrolled: 1-line block ×4, first 2 shown]
	s_waitcnt lgkmcnt(2)
	v_lshrrev_b32_e32 v116, 16, v89
	v_lshrrev_b32_e32 v112, 16, v87
	s_waitcnt vmcnt(15)
	v_mul_f16_sdwa v113, v87, v95 dst_sel:DWORD dst_unused:UNUSED_PAD src0_sel:DWORD src1_sel:WORD_1
	v_lshrrev_b32_e32 v114, 16, v88
	s_waitcnt vmcnt(14)
	v_mul_f16_sdwa v115, v88, v96 dst_sel:DWORD dst_unused:UNUSED_PAD src0_sel:DWORD src1_sel:WORD_1
	s_waitcnt vmcnt(13)
	v_mul_f16_sdwa v117, v89, v97 dst_sel:DWORD dst_unused:UNUSED_PAD src0_sel:DWORD src1_sel:WORD_1
	v_lshrrev_b32_e32 v118, 16, v90
	s_waitcnt vmcnt(12)
	v_mul_f16_sdwa v119, v90, v98 dst_sel:DWORD dst_unused:UNUSED_PAD src0_sel:DWORD src1_sel:WORD_1
	s_waitcnt lgkmcnt(1)
	v_lshrrev_b32_e32 v120, 16, v91
	s_waitcnt vmcnt(11)
	v_mul_f16_sdwa v121, v91, v99 dst_sel:DWORD dst_unused:UNUSED_PAD src0_sel:DWORD src1_sel:WORD_1
	v_lshrrev_b32_e32 v122, 16, v92
	v_mul_f16_sdwa v127, v112, v95 dst_sel:DWORD dst_unused:UNUSED_PAD src0_sel:DWORD src1_sel:WORD_1
	v_fma_f16 v112, v112, v95, v113
	v_mul_f16_sdwa v113, v114, v96 dst_sel:DWORD dst_unused:UNUSED_PAD src0_sel:DWORD src1_sel:WORD_1
	s_waitcnt vmcnt(10)
	v_mul_f16_sdwa v123, v92, v100 dst_sel:DWORD dst_unused:UNUSED_PAD src0_sel:DWORD src1_sel:WORD_1
	v_fma_f16 v114, v114, v96, v115
	v_mul_f16_sdwa v115, v116, v97 dst_sel:DWORD dst_unused:UNUSED_PAD src0_sel:DWORD src1_sel:WORD_1
	v_fma_f16 v116, v116, v97, v117
	;; [unrolled: 2-line block ×4, first 2 shown]
	v_mul_f16_sdwa v121, v122, v100 dst_sel:DWORD dst_unused:UNUSED_PAD src0_sel:DWORD src1_sel:WORD_1
	v_fma_f16 v87, v87, v95, -v127
	v_fma_f16 v88, v88, v96, -v113
	v_fma_f16 v122, v122, v100, v123
	v_fma_f16 v89, v89, v97, -v115
	v_fma_f16 v90, v90, v98, -v117
	;; [unrolled: 1-line block ×4, first 2 shown]
	v_pack_b32_f16 v87, v87, v112
	v_pack_b32_f16 v88, v88, v114
	;; [unrolled: 1-line block ×6, first 2 shown]
	ds_write2_b32 v43, v87, v88 offset0:70 offset1:140
	ds_write2_b32 v85, v89, v90 offset0:82 offset1:152
	;; [unrolled: 1-line block ×3, first 2 shown]
	ds_read2_b32 v[85:86], v84 offset0:118 offset1:188
	s_waitcnt lgkmcnt(4)
	v_lshrrev_b32_e32 v124, 16, v93
	s_waitcnt vmcnt(9)
	v_mul_f16_sdwa v125, v93, v101 dst_sel:DWORD dst_unused:UNUSED_PAD src0_sel:DWORD src1_sel:WORD_1
	v_lshrrev_b32_e32 v126, 16, v94
	v_mul_f16_sdwa v123, v124, v101 dst_sel:DWORD dst_unused:UNUSED_PAD src0_sel:DWORD src1_sel:WORD_1
	v_fma_f16 v124, v124, v101, v125
	s_waitcnt vmcnt(8)
	v_mul_f16_sdwa v125, v126, v102 dst_sel:DWORD dst_unused:UNUSED_PAD src0_sel:DWORD src1_sel:WORD_1
	v_mul_f16_sdwa v87, v94, v102 dst_sel:DWORD dst_unused:UNUSED_PAD src0_sel:DWORD src1_sel:WORD_1
	v_fma_f16 v93, v93, v101, -v123
	v_fma_f16 v95, v94, v102, -v125
	v_fma_f16 v87, v126, v102, v87
	v_pack_b32_f16 v93, v93, v124
	v_pack_b32_f16 v87, v95, v87
	ds_write2_b32 v104, v93, v87 offset0:106 offset1:176
	s_waitcnt lgkmcnt(1)
	v_lshrrev_b32_e32 v87, 16, v85
	s_waitcnt vmcnt(7)
	v_mul_f16_sdwa v88, v87, v103 dst_sel:DWORD dst_unused:UNUSED_PAD src0_sel:DWORD src1_sel:WORD_1
	v_fma_f16 v88, v85, v103, -v88
	v_mul_f16_sdwa v85, v85, v103 dst_sel:DWORD dst_unused:UNUSED_PAD src0_sel:DWORD src1_sel:WORD_1
	v_lshrrev_b32_e32 v89, 16, v86
	v_fma_f16 v85, v87, v103, v85
	s_waitcnt vmcnt(6)
	v_mul_f16_sdwa v87, v89, v105 dst_sel:DWORD dst_unused:UNUSED_PAD src0_sel:DWORD src1_sel:WORD_1
	v_pack_b32_f16 v85, v88, v85
	v_fma_f16 v90, v86, v105, -v87
	ds_read2_b32 v[87:88], v83 offset0:2 offset1:72
	v_mul_f16_sdwa v86, v86, v105 dst_sel:DWORD dst_unused:UNUSED_PAD src0_sel:DWORD src1_sel:WORD_1
	v_fma_f16 v86, v89, v105, v86
	v_pack_b32_f16 v86, v90, v86
	ds_write2_b32 v84, v85, v86 offset0:118 offset1:188
	s_waitcnt lgkmcnt(1)
	v_lshrrev_b32_e32 v84, 16, v87
	s_waitcnt vmcnt(5)
	v_mul_f16_sdwa v85, v84, v106 dst_sel:DWORD dst_unused:UNUSED_PAD src0_sel:DWORD src1_sel:WORD_1
	v_mul_f16_sdwa v86, v87, v106 dst_sel:DWORD dst_unused:UNUSED_PAD src0_sel:DWORD src1_sel:WORD_1
	v_fma_f16 v85, v87, v106, -v85
	v_fma_f16 v84, v84, v106, v86
	v_lshrrev_b32_e32 v87, 16, v88
	v_pack_b32_f16 v86, v85, v84
	s_waitcnt vmcnt(4)
	v_mul_f16_sdwa v84, v87, v107 dst_sel:DWORD dst_unused:UNUSED_PAD src0_sel:DWORD src1_sel:WORD_1
	v_fma_f16 v89, v88, v107, -v84
	ds_read2_b32 v[84:85], v83 offset0:142 offset1:212
	v_mul_f16_sdwa v88, v88, v107 dst_sel:DWORD dst_unused:UNUSED_PAD src0_sel:DWORD src1_sel:WORD_1
	v_fma_f16 v87, v87, v107, v88
	v_pack_b32_f16 v87, v89, v87
	ds_write2_b32 v83, v86, v87 offset0:2 offset1:72
	s_waitcnt lgkmcnt(1)
	v_lshrrev_b32_e32 v86, 16, v84
	s_waitcnt vmcnt(3)
	v_mul_f16_sdwa v87, v86, v108 dst_sel:DWORD dst_unused:UNUSED_PAD src0_sel:DWORD src1_sel:WORD_1
	v_fma_f16 v87, v84, v108, -v87
	v_mul_f16_sdwa v84, v84, v108 dst_sel:DWORD dst_unused:UNUSED_PAD src0_sel:DWORD src1_sel:WORD_1
	v_lshrrev_b32_e32 v88, 16, v85
	v_fma_f16 v84, v86, v108, v84
	s_waitcnt vmcnt(1)
	v_mul_f16_sdwa v86, v88, v110 dst_sel:DWORD dst_unused:UNUSED_PAD src0_sel:DWORD src1_sel:WORD_1
	v_add_u32_e32 v90, 0x1000, v43
	v_pack_b32_f16 v84, v87, v84
	v_fma_f16 v89, v85, v110, -v86
	ds_read2_b32 v[86:87], v90 offset0:26 offset1:96
	v_mul_f16_sdwa v85, v85, v110 dst_sel:DWORD dst_unused:UNUSED_PAD src0_sel:DWORD src1_sel:WORD_1
	v_fma_f16 v85, v88, v110, v85
	v_pack_b32_f16 v85, v89, v85
	ds_write2_b32 v83, v84, v85 offset0:142 offset1:212
	s_waitcnt lgkmcnt(1)
	v_lshrrev_b32_e32 v83, 16, v86
	v_mul_f16_sdwa v84, v83, v109 dst_sel:DWORD dst_unused:UNUSED_PAD src0_sel:DWORD src1_sel:WORD_1
	v_mul_f16_sdwa v85, v86, v109 dst_sel:DWORD dst_unused:UNUSED_PAD src0_sel:DWORD src1_sel:WORD_1
	v_fma_f16 v84, v86, v109, -v84
	v_fma_f16 v83, v83, v109, v85
	v_pack_b32_f16 v83, v84, v83
	v_lshrrev_b32_e32 v84, 16, v87
	s_waitcnt vmcnt(0)
	v_mul_f16_sdwa v85, v84, v111 dst_sel:DWORD dst_unused:UNUSED_PAD src0_sel:DWORD src1_sel:WORD_1
	v_mul_f16_sdwa v86, v87, v111 dst_sel:DWORD dst_unused:UNUSED_PAD src0_sel:DWORD src1_sel:WORD_1
	v_fma_f16 v85, v87, v111, -v85
	v_fma_f16 v84, v84, v111, v86
	v_pack_b32_f16 v84, v85, v84
	ds_write2_b32 v90, v83, v84 offset0:26 offset1:96
.LBB0_13:
	s_or_b64 exec, exec, s[4:5]
	s_waitcnt lgkmcnt(0)
	s_barrier
	s_and_saveexec_b64 s[4:5], s[0:1]
	s_cbranch_execz .LBB0_15
; %bb.14:
	v_add_u32_e32 v21, 0x200, v43
	ds_read_b32 v68, v43
	ds_read2_b32 v[29:30], v43 offset0:70 offset1:140
	ds_read2_b32 v[31:32], v21 offset0:82 offset1:152
	v_add_u32_e32 v21, 0x400, v43
	ds_read2_b32 v[33:34], v21 offset0:94 offset1:164
	v_add_u32_e32 v21, 0x600, v43
	;; [unrolled: 2-line block ×4, first 2 shown]
	ds_read2_b32 v[39:40], v21 offset0:2 offset1:72
	ds_read2_b32 v[27:28], v21 offset0:142 offset1:212
	v_add_u32_e32 v21, 0x1000, v43
	ds_read2_b32 v[21:22], v21 offset0:26 offset1:96
	s_waitcnt lgkmcnt(8)
	v_lshrrev_b32_e32 v69, 16, v68
	s_waitcnt lgkmcnt(7)
	v_lshrrev_b32_e32 v70, 16, v29
	v_lshrrev_b32_e32 v71, 16, v30
	s_waitcnt lgkmcnt(6)
	v_lshrrev_b32_e32 v72, 16, v31
	;; [unrolled: 3-line block ×8, first 2 shown]
	v_lshrrev_b32_e32 v47, 16, v22
.LBB0_15:
	s_or_b64 exec, exec, s[4:5]
	v_sub_f16_e32 v101, v70, v47
	v_add_f16_e32 v85, v22, v29
	v_add_f16_e32 v105, v47, v70
	s_movk_i32 s14, 0x3722
	v_mul_f16_e32 v121, 0xbb29, v101
	v_sub_f16_e32 v103, v71, v46
	v_sub_f16_e32 v87, v29, v22
	s_mov_b32 s17, 0xbb29
	v_mul_f16_e32 v123, 0x3722, v105
	v_fma_f16 v83, v85, s14, -v121
	v_add_f16_e32 v86, v21, v30
	v_add_f16_e32 v108, v46, v71
	s_mov_b32 s15, 0xb8d2
	v_mul_f16_e32 v122, 0xba62, v103
	v_add_f16_e32 v83, v68, v83
	v_fma_f16 v84, v87, s17, v123
	v_sub_f16_e32 v89, v30, v21
	s_mov_b32 s18, 0xba62
	v_mul_f16_e32 v126, 0xb8d2, v108
	v_fma_f16 v88, v86, s15, -v122
	v_add_f16_e32 v84, v69, v84
	v_add_f16_e32 v83, v88, v83
	v_fma_f16 v88, v89, s18, v126
	v_sub_f16_e32 v104, v72, v67
	v_add_f16_e32 v84, v88, v84
	v_add_f16_e32 v88, v28, v31
	;; [unrolled: 1-line block ×3, first 2 shown]
	s_mov_b32 s16, 0xbbdd
	v_mul_f16_e32 v125, 0x31e1, v104
	v_sub_f16_e32 v91, v31, v28
	s_movk_i32 s29, 0x31e1
	v_mul_f16_e32 v128, 0xbbdd, v110
	v_fma_f16 v90, v88, s16, -v125
	v_add_f16_e32 v83, v90, v83
	v_fma_f16 v90, v91, s29, v128
	v_sub_f16_e32 v106, v73, v82
	v_add_f16_e32 v84, v90, v84
	v_add_f16_e32 v90, v27, v32
	;; [unrolled: 1-line block ×3, first 2 shown]
	s_mov_b32 s19, 0xb461
	v_mul_f16_e32 v127, 0x3bb2, v106
	v_sub_f16_e32 v93, v32, v27
	s_movk_i32 s24, 0x3bb2
	v_mul_f16_e32 v130, 0xb461, v112
	v_fma_f16 v92, v90, s19, -v127
	v_add_f16_e32 v83, v92, v83
	v_fma_f16 v92, v93, s24, v130
	v_sub_f16_e32 v109, v74, v81
	v_add_f16_e32 v84, v92, v84
	v_add_f16_e32 v92, v40, v33
	;; [unrolled: 1-line block ×3, first 2 shown]
	s_movk_i32 s20, 0x39e9
	v_mul_f16_e32 v129, 0x3964, v109
	v_sub_f16_e32 v95, v33, v40
	s_movk_i32 s31, 0x3964
	v_mul_f16_e32 v132, 0x39e9, v115
	v_fma_f16 v94, v92, s20, -v129
	v_add_f16_e32 v83, v94, v83
	v_fma_f16 v94, v95, s31, v132
	v_sub_f16_e32 v111, v75, v80
	v_add_f16_e32 v84, v94, v84
	v_add_f16_e32 v94, v39, v34
	v_add_f16_e32 v117, v80, v75
	s_movk_i32 s21, 0x3b76
	v_mul_f16_e32 v131, 0xb5c8, v111
	v_sub_f16_e32 v97, v34, v39
	s_mov_b32 s25, 0xb5c8
	v_mul_f16_e32 v134, 0x3b76, v117
	v_fma_f16 v96, v94, s21, -v131
	v_add_f16_e32 v83, v96, v83
	v_fma_f16 v96, v97, s25, v134
	v_sub_f16_e32 v113, v76, v79
	v_add_f16_e32 v84, v96, v84
	v_add_f16_e32 v96, v38, v35
	;; [unrolled: 1-line block ×3, first 2 shown]
	s_movk_i32 s22, 0x2de8
	v_mul_f16_e32 v133, 0xbbf7, v113
	v_sub_f16_e32 v99, v35, v38
	s_mov_b32 s26, 0xbbf7
	v_mul_f16_e32 v136, 0x2de8, v118
	v_fma_f16 v98, v96, s22, -v133
	v_add_f16_e32 v83, v98, v83
	v_fma_f16 v98, v99, s26, v136
	v_sub_f16_e32 v116, v77, v78
	v_add_f16_e32 v84, v98, v84
	v_add_f16_e32 v98, v37, v36
	v_add_f16_e32 v120, v78, v77
	s_mov_b32 s23, 0xbacd
	v_mul_f16_e32 v135, 0xb836, v116
	v_sub_f16_e32 v100, v36, v37
	s_mov_b32 s27, 0xb836
	v_mul_f16_e32 v137, 0xbacd, v120
	v_fma_f16 v102, v98, s23, -v135
	v_add_f16_e32 v83, v102, v83
	v_fma_f16 v102, v100, s27, v137
	v_add_f16_e32 v84, v102, v84
	s_barrier
	s_and_saveexec_b64 s[4:5], s[0:1]
	s_cbranch_execz .LBB0_17
; %bb.16:
	v_mul_f16_e32 v154, 0xbbf7, v87
	v_fma_f16 v102, v105, s22, v154
	v_mul_f16_e32 v155, 0xb1e1, v89
	v_add_f16_e32 v102, v69, v102
	v_fma_f16 v107, v108, s16, v155
	v_mul_f16_e32 v156, 0x3bb2, v91
	v_add_f16_e32 v102, v107, v102
	;; [unrolled: 3-line block ×8, first 2 shown]
	v_fma_f16 v107, v85, s22, -v162
	v_mul_f16_e32 v163, 0xb1e1, v103
	v_add_f16_e32 v107, v68, v107
	v_fma_f16 v114, v86, s16, -v163
	v_mul_f16_e32 v164, 0x3bb2, v104
	v_add_f16_e32 v107, v114, v107
	v_fma_f16 v114, v88, s19, -v164
	v_mul_f16_e32 v165, 0x35c8, v106
	v_add_f16_e32 v107, v114, v107
	v_fma_f16 v114, v90, s21, -v165
	v_mul_f16_e32 v166, 0xbb29, v109
	v_add_f16_e32 v107, v114, v107
	v_fma_f16 v114, v92, s14, -v166
	v_mul_f16_e32 v167, 0xb836, v111
	v_add_f16_e32 v107, v114, v107
	v_fma_f16 v114, v94, s23, -v167
	v_mul_f16_e32 v168, 0x3a62, v113
	v_add_f16_e32 v107, v114, v107
	v_fma_f16 v114, v96, s15, -v168
	v_mul_f16_e32 v169, 0x3964, v116
	v_add_f16_e32 v107, v114, v107
	v_fma_f16 v114, v98, s20, -v169
	v_mul_f16_e32 v170, 0xbbb2, v87
	v_add_f16_e32 v107, v114, v107
	v_fma_f16 v114, v105, s19, v170
	v_mul_f16_e32 v171, 0x3836, v89
	v_add_f16_e32 v114, v69, v114
	v_fma_f16 v119, v108, s23, v171
	v_mul_f16_e32 v172, 0x3964, v91
	v_add_f16_e32 v114, v119, v114
	;; [unrolled: 3-line block ×8, first 2 shown]
	v_fma_f16 v119, v85, s19, -v178
	v_mul_f16_e32 v179, 0x3836, v103
	v_add_f16_e32 v119, v68, v119
	v_fma_f16 v124, v86, s23, -v179
	v_mul_f16_e32 v180, 0x3964, v104
	v_add_f16_e32 v119, v124, v119
	;; [unrolled: 3-line block ×8, first 2 shown]
	v_fma_f16 v124, v105, s15, v186
	v_mul_f16_e32 v187, 0x3bb2, v89
	v_add_f16_e32 v124, v69, v124
	v_fma_f16 v188, v108, s19, v187
	v_add_f16_e32 v124, v188, v124
	v_mul_f16_e32 v188, 0xb5c8, v91
	v_fma_f16 v189, v110, s21, v188
	v_add_f16_e32 v124, v189, v124
	v_mul_f16_e32 v189, 0xb836, v93
	;; [unrolled: 3-line block ×7, first 2 shown]
	v_fma_f16 v195, v85, s15, -v194
	v_mul_f16_e32 v196, 0x3bb2, v103
	v_add_f16_e32 v195, v68, v195
	v_fma_f16 v197, v86, s19, -v196
	v_add_f16_e32 v195, v197, v195
	v_mul_f16_e32 v197, 0xb5c8, v104
	v_fma_f16 v198, v88, s21, -v197
	v_add_f16_e32 v195, v198, v195
	v_mul_f16_e32 v198, 0xb836, v106
	;; [unrolled: 3-line block ×7, first 2 shown]
	v_fma_f16 v204, v105, s23, v203
	v_mul_f16_e32 v205, 0x3b29, v89
	v_add_f16_e32 v204, v69, v204
	v_fma_f16 v206, v108, s14, v205
	v_add_f16_e32 v204, v206, v204
	v_mul_f16_e32 v206, 0xbbf7, v91
	v_fma_f16 v207, v110, s22, v206
	v_mul_f16_e32 v138, 0x3722, v85
	v_add_f16_e32 v204, v207, v204
	v_mul_f16_e32 v207, 0x3a62, v93
	v_mul_f16_e32 v139, 0xbb29, v87
	;; [unrolled: 1-line block ×3, first 2 shown]
	v_fma_f16 v208, v112, s15, v207
	v_add_f16_e32 v121, v138, v121
	v_mul_f16_e32 v141, 0xba62, v89
	v_mul_f16_e32 v142, 0xbbdd, v88
	v_add_f16_e32 v204, v208, v204
	v_mul_f16_e32 v208, 0xb5c8, v95
	v_sub_f16_e32 v123, v123, v139
	v_add_f16_e32 v121, v68, v121
	v_add_f16_e32 v122, v140, v122
	v_mul_f16_e32 v143, 0x31e1, v91
	v_mul_f16_e32 v144, 0xb461, v90
	v_fma_f16 v209, v115, s21, v208
	v_add_f16_e32 v123, v69, v123
	v_sub_f16_e32 v126, v126, v141
	v_add_f16_e32 v121, v122, v121
	v_add_f16_e32 v122, v142, v125
	v_mul_f16_e32 v145, 0x3bb2, v93
	v_mul_f16_e32 v146, 0x39e9, v92
	v_add_f16_e32 v204, v209, v204
	v_mul_f16_e32 v209, 0xb1e1, v97
	v_add_f16_e32 v123, v126, v123
	v_sub_f16_e32 v126, v128, v143
	v_add_f16_e32 v121, v122, v121
	v_add_f16_e32 v122, v144, v127
	v_mul_f16_e32 v147, 0x3964, v95
	v_mul_f16_e32 v148, 0x3b76, v94
	v_fma_f16 v210, v117, s16, v209
	v_add_f16_e32 v123, v126, v123
	v_sub_f16_e32 v126, v130, v145
	v_add_f16_e32 v121, v122, v121
	v_add_f16_e32 v122, v146, v129
	v_mul_f16_e32 v149, 0xb5c8, v97
	v_mul_f16_e32 v150, 0x2de8, v96
	v_add_f16_e32 v204, v210, v204
	v_mul_f16_e32 v210, 0x3964, v99
	v_add_f16_e32 v123, v126, v123
	v_sub_f16_e32 v126, v132, v147
	v_add_f16_e32 v121, v122, v121
	v_add_f16_e32 v122, v148, v131
	v_mul_f16_e32 v151, 0xbbf7, v99
	v_mul_f16_e32 v152, 0xbacd, v98
	v_fma_f16 v211, v118, s20, v210
	v_add_f16_e32 v123, v126, v123
	v_sub_f16_e32 v126, v134, v149
	v_add_f16_e32 v121, v122, v121
	v_add_f16_e32 v122, v150, v133
	v_mul_f16_e32 v153, 0xb836, v100
	v_add_f16_e32 v204, v211, v204
	v_mul_f16_e32 v211, 0xbbb2, v100
	v_add_f16_e32 v123, v126, v123
	v_sub_f16_e32 v126, v136, v151
	v_add_f16_e32 v121, v122, v121
	v_add_f16_e32 v122, v152, v135
	v_fma_f16 v212, v120, s19, v211
	v_add_f16_e32 v123, v126, v123
	v_sub_f16_e32 v126, v137, v153
	v_add_f16_e32 v121, v122, v121
	v_mul_f16_e32 v122, 0x39e9, v105
	s_movk_i32 s38, 0x3bf7
	v_add_f16_e32 v204, v212, v204
	v_mul_f16_e32 v212, 0xb836, v101
	v_add_f16_e32 v123, v126, v123
	v_fma_f16 v125, v87, s31, v122
	v_mul_f16_e32 v126, 0x2de8, v108
	v_add_f16_e32 v29, v29, v68
	v_fma_f16 v213, v85, s23, -v212
	v_mul_f16_e32 v214, 0x3b29, v103
	v_add_f16_e32 v125, v69, v125
	v_fma_f16 v127, v89, s38, v126
	v_add_f16_e32 v29, v30, v29
	s_movk_i32 s36, 0x3a62
	v_add_f16_e32 v213, v68, v213
	v_fma_f16 v215, v86, s14, -v214
	v_add_f16_e32 v125, v127, v125
	v_mul_f16_e32 v127, 0xb8d2, v110
	v_add_f16_e32 v29, v31, v29
	v_add_f16_e32 v213, v215, v213
	v_mul_f16_e32 v215, 0xbbf7, v104
	v_fma_f16 v128, v91, s36, v127
	v_add_f16_e32 v29, v32, v29
	v_fma_f16 v216, v88, s22, -v215
	v_add_f16_e32 v125, v128, v125
	v_mul_f16_e32 v128, 0xbbdd, v112
	v_add_f16_e32 v29, v33, v29
	v_add_f16_e32 v213, v216, v213
	v_mul_f16_e32 v216, 0x3a62, v106
	v_fma_f16 v129, v93, s29, v128
	;; [unrolled: 8-line block ×3, first 2 shown]
	v_add_f16_e32 v29, v36, v29
	s_mov_b32 s33, 0xbbb2
	v_fma_f16 v218, v92, s21, -v217
	v_add_f16_e32 v125, v130, v125
	v_mul_f16_e32 v130, 0xb461, v117
	v_add_f16_e32 v29, v37, v29
	v_add_f16_e32 v213, v218, v213
	v_mul_f16_e32 v218, 0xb1e1, v111
	v_fma_f16 v131, v97, s33, v130
	v_add_f16_e32 v29, v38, v29
	v_fma_f16 v219, v94, s16, -v218
	v_add_f16_e32 v125, v131, v125
	v_mul_f16_e32 v131, 0x3722, v118
	v_add_f16_e32 v29, v39, v29
	v_add_f16_e32 v213, v219, v213
	v_mul_f16_e32 v219, 0x3964, v113
	v_fma_f16 v132, v99, s17, v131
	v_add_f16_e32 v29, v40, v29
	v_fma_f16 v220, v96, s20, -v219
	v_add_f16_e32 v125, v132, v125
	v_mul_f16_e32 v132, 0x3b76, v120
	v_add_f16_e32 v27, v27, v29
	s_mov_b32 s35, 0xb964
	v_add_f16_e32 v213, v220, v213
	v_mul_f16_e32 v220, 0xbbb2, v116
	v_fma_f16 v133, v100, s25, v132
	v_add_f16_e32 v27, v28, v27
	v_fma_f16 v221, v98, s19, -v220
	v_add_f16_e32 v125, v133, v125
	v_mul_f16_e32 v133, 0xb964, v101
	v_add_f16_e32 v21, v21, v27
	v_fma_f16 v27, v87, s35, v122
	v_add_f16_e32 v213, v221, v213
	v_mul_f16_e32 v221, 0xb1e1, v87
	v_fma_f16 v134, v85, s20, v133
	v_mul_f16_e32 v135, 0xbbf7, v103
	v_add_f16_e32 v27, v69, v27
	v_fma_f16 v28, v89, s26, v126
	s_mov_b32 s28, 0xb1e1
	v_fma_f16 v222, v105, s16, v221
	v_mul_f16_e32 v223, 0x35c8, v89
	v_add_f16_e32 v134, v68, v134
	v_fma_f16 v136, v86, s22, v135
	v_add_f16_e32 v27, v28, v27
	v_fma_f16 v28, v91, s18, v127
	s_movk_i32 s34, 0x3836
	v_add_f16_e32 v222, v69, v222
	v_fma_f16 v224, v108, s21, v223
	v_add_f16_e32 v134, v136, v134
	v_mul_f16_e32 v136, 0xba62, v104
	v_add_f16_e32 v27, v28, v27
	v_fma_f16 v28, v93, s28, v128
	v_add_f16_e32 v222, v224, v222
	v_mul_f16_e32 v224, 0xb836, v91
	v_fma_f16 v137, v88, s15, v136
	v_add_f16_e32 v27, v28, v27
	v_fma_f16 v28, v95, s34, v129
	s_movk_i32 s37, 0x3b29
	v_fma_f16 v225, v110, s23, v224
	v_add_f16_e32 v134, v137, v134
	v_mul_f16_e32 v137, 0xb1e1, v106
	v_add_f16_e32 v27, v28, v27
	v_fma_f16 v28, v97, s24, v130
	s_movk_i32 s30, 0x35c8
	v_add_f16_e32 v222, v225, v222
	v_mul_f16_e32 v225, 0x3964, v93
	v_fma_f16 v138, v90, s16, v137
	v_add_f16_e32 v27, v28, v27
	v_fma_f16 v28, v99, s37, v131
	v_fma_f16 v226, v112, s20, v225
	v_add_f16_e32 v134, v138, v134
	v_mul_f16_e32 v138, 0x3836, v109
	v_add_f16_e32 v27, v28, v27
	v_fma_f16 v28, v100, s30, v132
	v_add_f16_e32 v222, v226, v222
	v_mul_f16_e32 v226, 0xba62, v95
	v_fma_f16 v139, v92, s23, v138
	v_add_f16_e32 v27, v28, v27
	v_fma_f16 v28, v85, s20, -v133
	v_fma_f16 v227, v115, s15, v226
	v_add_f16_e32 v134, v139, v134
	v_mul_f16_e32 v139, 0x3bb2, v111
	v_add_f16_e32 v28, v68, v28
	v_fma_f16 v29, v86, s22, -v135
	v_add_f16_e32 v222, v227, v222
	v_mul_f16_e32 v227, 0x3b29, v97
	v_fma_f16 v140, v94, s19, v139
	v_add_f16_e32 v28, v29, v28
	v_fma_f16 v29, v88, s15, -v136
	v_fma_f16 v228, v117, s14, v227
	v_add_f16_e32 v134, v140, v134
	v_mul_f16_e32 v140, 0x3b29, v113
	v_add_f16_e32 v28, v29, v28
	v_fma_f16 v29, v90, s16, -v137
	v_add_f16_e32 v222, v228, v222
	v_mul_f16_e32 v228, 0xbbb2, v99
	v_fma_f16 v141, v96, s14, v140
	v_add_f16_e32 v28, v29, v28
	v_fma_f16 v29, v92, s23, -v138
	v_fma_f16 v229, v118, s19, v228
	v_add_f16_e32 v134, v141, v134
	v_mul_f16_e32 v141, 0x35c8, v116
	v_add_f16_e32 v28, v29, v28
	v_fma_f16 v29, v94, s19, -v139
	v_add_f16_e32 v222, v229, v222
	v_mul_f16_e32 v229, 0x3bf7, v100
	v_fma_f16 v221, v105, s16, -v221
	v_fma_f16 v203, v105, s23, -v203
	;; [unrolled: 1-line block ×5, first 2 shown]
	v_fma_f16 v142, v98, s21, v141
	v_mul_f16_e32 v105, 0x3b76, v105
	v_add_f16_e32 v28, v29, v28
	v_fma_f16 v29, v96, s14, -v140
	v_fma_f16 v230, v120, s22, v229
	v_add_f16_e32 v221, v69, v221
	v_fma_f16 v223, v108, s21, -v223
	v_add_f16_e32 v203, v69, v203
	v_fma_f16 v205, v108, s14, -v205
	;; [unrolled: 2-line block ×5, first 2 shown]
	v_add_f16_e32 v134, v142, v134
	v_fma_f16 v142, v87, s30, v105
	v_mul_f16_e32 v108, 0x39e9, v108
	v_add_f16_e32 v28, v29, v28
	v_fma_f16 v29, v98, s21, -v141
	v_add_f16_e32 v222, v230, v222
	v_mul_f16_e32 v230, 0xb1e1, v101
	v_add_f16_e32 v221, v223, v221
	v_fma_f16 v223, v110, s23, -v224
	v_add_f16_e32 v203, v205, v203
	v_fma_f16 v205, v110, s22, -v206
	;; [unrolled: 2-line block ×5, first 2 shown]
	v_add_f16_e32 v142, v69, v142
	v_fma_f16 v143, v89, s31, v108
	v_mul_f16_e32 v110, 0x3722, v110
	v_add_f16_e32 v21, v22, v21
	v_add_f16_e32 v22, v70, v69
	;; [unrolled: 1-line block ×3, first 2 shown]
	v_fma_f16 v29, v87, s25, v105
	v_fma_f16 v231, v85, s16, -v230
	v_mul_f16_e32 v232, 0x35c8, v103
	v_add_f16_e32 v221, v223, v221
	v_fma_f16 v223, v112, s20, -v225
	v_add_f16_e32 v203, v205, v203
	v_fma_f16 v205, v112, s15, -v207
	v_add_f16_e32 v186, v187, v186
	v_fma_f16 v187, v112, s23, -v189
	v_add_f16_e32 v170, v171, v170
	v_fma_f16 v171, v112, s14, -v173
	v_add_f16_e32 v154, v155, v154
	v_fma_f16 v155, v112, s21, -v157
	v_add_f16_e32 v142, v143, v142
	v_fma_f16 v143, v91, s37, v110
	v_mul_f16_e32 v112, 0x2de8, v112
	v_add_f16_e32 v22, v71, v22
	v_add_f16_e32 v29, v69, v29
	v_fma_f16 v30, v89, s35, v108
	v_add_f16_e32 v231, v68, v231
	v_fma_f16 v233, v86, s21, -v232
	v_add_f16_e32 v221, v223, v221
	v_fma_f16 v223, v115, s15, -v226
	;; [unrolled: 2-line block ×6, first 2 shown]
	v_add_f16_e32 v142, v143, v142
	v_fma_f16 v143, v93, s38, v112
	v_mul_f16_e32 v115, 0xb461, v115
	v_add_f16_e32 v22, v72, v22
	v_add_f16_e32 v29, v30, v29
	v_fma_f16 v30, v91, s17, v110
	v_add_f16_e32 v231, v233, v231
	v_mul_f16_e32 v233, 0xb836, v104
	v_add_f16_e32 v221, v223, v221
	v_fma_f16 v223, v117, s14, -v227
	v_add_f16_e32 v203, v205, v203
	v_fma_f16 v205, v117, s16, -v209
	;; [unrolled: 2-line block ×5, first 2 shown]
	v_add_f16_e32 v142, v143, v142
	v_fma_f16 v143, v95, s24, v115
	v_mul_f16_e32 v117, 0xb8d2, v117
	v_add_f16_e32 v22, v73, v22
	v_add_f16_e32 v29, v30, v29
	v_fma_f16 v30, v93, s26, v112
	v_fma_f16 v234, v88, s23, -v233
	v_add_f16_e32 v221, v223, v221
	v_fma_f16 v223, v118, s19, -v228
	v_add_f16_e32 v203, v205, v203
	;; [unrolled: 2-line block ×6, first 2 shown]
	v_fma_f16 v143, v97, s36, v117
	v_mul_f16_e32 v118, 0xbacd, v118
	v_add_f16_e32 v22, v74, v22
	v_add_f16_e32 v29, v30, v29
	v_fma_f16 v30, v95, s33, v115
	v_add_f16_e32 v231, v234, v231
	v_mul_f16_e32 v234, 0x3964, v106
	v_add_f16_e32 v221, v223, v221
	v_fma_f16 v223, v120, s22, -v229
	v_add_f16_e32 v203, v205, v203
	v_fma_f16 v205, v120, s19, -v211
	;; [unrolled: 2-line block ×5, first 2 shown]
	v_add_f16_e32 v142, v143, v142
	v_fma_f16 v143, v99, s34, v118
	v_mul_f16_e32 v120, 0xbbdd, v120
	v_add_f16_e32 v22, v75, v22
	v_add_f16_e32 v29, v30, v29
	v_fma_f16 v30, v97, s18, v117
	v_fma_f16 v235, v90, s20, -v234
	v_add_f16_e32 v142, v143, v142
	v_fma_f16 v143, v100, s29, v120
	v_mul_f16_e32 v101, 0xb5c8, v101
	v_add_f16_e32 v22, v76, v22
	v_add_f16_e32 v29, v30, v29
	v_fma_f16 v30, v99, s27, v118
	v_add_f16_e32 v231, v235, v231
	v_mul_f16_e32 v235, 0xba62, v109
	v_add_f16_e32 v142, v143, v142
	v_fma_f16 v143, v85, s21, v101
	v_mul_f16_e32 v103, 0xb964, v103
	v_add_f16_e32 v22, v77, v22
	v_add_f16_e32 v29, v30, v29
	v_fma_f16 v30, v100, s28, v120
	v_fma_f16 v236, v92, s15, -v235
	v_add_f16_e32 v143, v68, v143
	v_fma_f16 v144, v86, s20, v103
	v_mul_f16_e32 v104, 0xbb29, v104
	v_add_f16_e32 v22, v78, v22
	v_add_f16_e32 v29, v30, v29
	v_fma_f16 v30, v85, s21, -v101
	v_add_f16_e32 v231, v236, v231
	v_mul_f16_e32 v236, 0x3b29, v111
	v_add_f16_e32 v170, v171, v170
	v_fma_f16 v171, v85, s19, v178
	v_add_f16_e32 v154, v155, v154
	v_fma_f16 v155, v85, s22, v162
	;; [unrolled: 2-line block ×3, first 2 shown]
	v_mul_f16_e32 v106, 0xbbf7, v106
	v_add_f16_e32 v22, v79, v22
	v_add_f16_e32 v30, v68, v30
	v_fma_f16 v31, v86, s20, -v103
	v_fma_f16 v237, v94, s14, -v236
	v_add_f16_e32 v203, v205, v203
	v_fma_f16 v205, v85, s23, v212
	v_add_f16_e32 v186, v187, v186
	v_fma_f16 v187, v85, s15, v194
	;; [unrolled: 2-line block ×5, first 2 shown]
	v_mul_f16_e32 v109, 0xbbb2, v109
	v_add_f16_e32 v22, v80, v22
	v_add_f16_e32 v30, v31, v30
	v_fma_f16 v31, v88, s14, -v104
	v_add_f16_e32 v231, v237, v231
	v_mul_f16_e32 v237, 0xbbb2, v113
	v_add_f16_e32 v221, v223, v221
	v_fma_f16 v223, v85, s16, v230
	v_add_f16_e32 v205, v68, v205
	v_fma_f16 v206, v86, s14, v214
	;; [unrolled: 2-line block ×6, first 2 shown]
	v_mul_f16_e32 v111, 0xba62, v111
	v_add_f16_e32 v22, v81, v22
	v_add_f16_e32 v30, v31, v30
	v_fma_f16 v31, v90, s22, -v106
	v_fma_f16 v238, v96, s19, -v237
	v_add_f16_e32 v223, v68, v223
	v_fma_f16 v224, v86, s21, v232
	v_add_f16_e32 v205, v206, v205
	v_fma_f16 v206, v88, s22, v215
	;; [unrolled: 2-line block ×6, first 2 shown]
	v_mul_f16_e32 v113, 0xb836, v113
	v_add_f16_e32 v22, v82, v22
	v_add_f16_e32 v30, v31, v30
	v_fma_f16 v31, v92, s19, -v109
	v_add_f16_e32 v231, v238, v231
	v_mul_f16_e32 v238, 0x3bf7, v116
	v_add_f16_e32 v223, v224, v223
	v_fma_f16 v224, v88, s23, v233
	v_add_f16_e32 v205, v206, v205
	v_fma_f16 v206, v90, s15, v216
	;; [unrolled: 2-line block ×6, first 2 shown]
	v_mul_f16_e32 v116, 0xb1e1, v116
	v_add_f16_e32 v22, v67, v22
	v_add_f16_e32 v30, v31, v30
	v_fma_f16 v31, v94, s15, -v111
	v_add_f16_e32 v223, v224, v223
	v_fma_f16 v224, v90, s20, v234
	v_add_f16_e32 v205, v206, v205
	v_fma_f16 v206, v92, s21, v217
	;; [unrolled: 2-line block ×6, first 2 shown]
	v_add_f16_e32 v22, v46, v22
	v_add_f16_e32 v30, v31, v30
	v_fma_f16 v31, v96, s23, -v113
	v_add_f16_e32 v223, v224, v223
	v_fma_f16 v224, v92, s15, v235
	v_add_f16_e32 v205, v206, v205
	v_fma_f16 v206, v94, s16, v218
	;; [unrolled: 2-line block ×5, first 2 shown]
	v_add_f16_e32 v143, v144, v143
	v_add_f16_e32 v22, v47, v22
	;; [unrolled: 1-line block ×3, first 2 shown]
	v_fma_f16 v31, v98, s16, -v116
	v_add_f16_e32 v223, v224, v223
	v_fma_f16 v224, v94, s14, v236
	v_add_f16_e32 v205, v206, v205
	v_fma_f16 v206, v96, s20, v219
	;; [unrolled: 2-line block ×5, first 2 shown]
	v_add_f16_e32 v30, v31, v30
	v_lshl_add_u32 v31, v45, 2, v44
	v_pack_b32_f16 v32, v143, v142
	v_pack_b32_f16 v21, v21, v22
	v_add_f16_e32 v223, v224, v223
	v_fma_f16 v224, v96, s19, v237
	v_add_f16_e32 v205, v206, v205
	v_fma_f16 v206, v98, s19, v220
	;; [unrolled: 2-line block ×3, first 2 shown]
	v_add_f16_e32 v171, v172, v171
	v_add_f16_e32 v155, v156, v155
	ds_write2_b32 v31, v21, v32 offset1:1
	v_pack_b32_f16 v21, v121, v123
	v_pack_b32_f16 v22, v134, v125
	v_fma_f16 v239, v98, s22, -v238
	v_add_f16_e32 v223, v224, v223
	v_fma_f16 v224, v98, s22, v238
	v_add_f16_e32 v205, v206, v205
	v_add_f16_e32 v187, v188, v187
	ds_write2_b32 v31, v22, v21 offset0:2 offset1:3
	v_pack_b32_f16 v21, v171, v170
	v_pack_b32_f16 v22, v155, v154
	v_add_f16_e32 v231, v239, v231
	v_add_f16_e32 v223, v224, v223
	ds_write2_b32 v31, v22, v21 offset0:4 offset1:5
	v_pack_b32_f16 v21, v205, v203
	v_pack_b32_f16 v22, v187, v186
	ds_write2_b32 v31, v22, v21 offset0:6 offset1:7
	v_pack_b32_f16 v21, v231, v222
	v_pack_b32_f16 v22, v223, v221
	;; [unrolled: 3-line block ×4, first 2 shown]
	s_mov_b32 s14, 0x5040100
	ds_write2_b32 v31, v22, v21 offset0:12 offset1:13
	v_pack_b32_f16 v21, v28, v27
	v_perm_b32 v22, v84, v83, s14
	ds_write2_b32 v31, v22, v21 offset0:14 offset1:15
	v_pack_b32_f16 v21, v30, v29
	ds_write_b32 v31, v21 offset:64
.LBB0_17:
	s_or_b64 exec, exec, s[4:5]
	v_add_u32_e32 v39, 0x600, v48
	s_waitcnt lgkmcnt(0)
	s_barrier
	ds_read2_b32 v[27:28], v39 offset0:126 offset1:211
	v_add_u32_e32 v29, 0x800, v48
	ds_read2_b32 v[21:22], v48 offset1:85
	ds_read2_b32 v[29:30], v29 offset0:168 offset1:253
	ds_read2_b32 v[31:32], v48 offset0:170 offset1:255
	v_add_u32_e32 v33, 0xc00, v48
	s_waitcnt lgkmcnt(3)
	v_lshrrev_b32_e32 v45, 16, v28
	ds_read2_b32 v[33:34], v33 offset0:82 offset1:167
	v_add_u32_e32 v70, 0xe00, v48
	ds_read2_b32 v[37:38], v70 offset0:124 offset1:209
	v_mul_f16_sdwa v78, v51, v45 dst_sel:DWORD dst_unused:UNUSED_PAD src0_sel:WORD_1 src1_sel:DWORD
	s_waitcnt lgkmcnt(3)
	v_lshrrev_b32_e32 v47, 16, v29
	v_fma_f16 v78, v51, v28, v78
	v_mul_f16_sdwa v28, v51, v28 dst_sel:DWORD dst_unused:UNUSED_PAD src0_sel:WORD_1 src1_sel:DWORD
	v_fma_f16 v28, v51, v45, -v28
	v_mul_f16_sdwa v45, v52, v47 dst_sel:DWORD dst_unused:UNUSED_PAD src0_sel:WORD_1 src1_sel:DWORD
	v_lshrrev_b32_e32 v68, 16, v30
	v_add_u32_e32 v35, 0x400, v48
	v_fma_f16 v45, v52, v29, v45
	v_mul_f16_sdwa v29, v52, v29 dst_sel:DWORD dst_unused:UNUSED_PAD src0_sel:WORD_1 src1_sel:DWORD
	ds_read2_b32 v[35:36], v35 offset0:84 offset1:169
	s_waitcnt lgkmcnt(2)
	v_lshrrev_b32_e32 v71, 16, v33
	v_fma_f16 v29, v52, v47, -v29
	v_mul_f16_sdwa v47, v53, v68 dst_sel:DWORD dst_unused:UNUSED_PAD src0_sel:WORD_1 src1_sel:DWORD
	v_lshrrev_b32_e32 v73, 16, v34
	s_waitcnt lgkmcnt(1)
	v_lshrrev_b32_e32 v75, 16, v37
	v_fma_f16 v47, v53, v30, v47
	v_mul_f16_sdwa v30, v53, v30 dst_sel:DWORD dst_unused:UNUSED_PAD src0_sel:WORD_1 src1_sel:DWORD
	v_mul_f16_sdwa v51, v54, v71 dst_sel:DWORD dst_unused:UNUSED_PAD src0_sel:WORD_1 src1_sel:DWORD
	v_lshrrev_b32_e32 v77, 16, v38
	v_fma_f16 v30, v53, v68, -v30
	v_fma_f16 v51, v54, v33, v51
	v_mul_f16_sdwa v33, v54, v33 dst_sel:DWORD dst_unused:UNUSED_PAD src0_sel:WORD_1 src1_sel:DWORD
	v_mul_f16_sdwa v52, v55, v73 dst_sel:DWORD dst_unused:UNUSED_PAD src0_sel:WORD_1 src1_sel:DWORD
	;; [unrolled: 1-line block ×3, first 2 shown]
	v_lshrrev_b32_e32 v40, 16, v21
	v_fma_f16 v33, v54, v71, -v33
	v_fma_f16 v52, v55, v34, v52
	v_mul_f16_sdwa v34, v55, v34 dst_sel:DWORD dst_unused:UNUSED_PAD src0_sel:WORD_1 src1_sel:DWORD
	v_fma_f16 v53, v56, v37, v53
	v_mul_f16_sdwa v37, v56, v37 dst_sel:DWORD dst_unused:UNUSED_PAD src0_sel:WORD_1 src1_sel:DWORD
	v_mul_f16_sdwa v54, v57, v77 dst_sel:DWORD dst_unused:UNUSED_PAD src0_sel:WORD_1 src1_sel:DWORD
	v_lshrrev_b32_e32 v46, 16, v22
	v_fma_f16 v34, v55, v73, -v34
	v_fma_f16 v37, v56, v75, -v37
	v_fma_f16 v54, v57, v38, v54
	v_mul_f16_sdwa v38, v57, v38 dst_sel:DWORD dst_unused:UNUSED_PAD src0_sel:WORD_1 src1_sel:DWORD
	v_sub_f16_e32 v55, v21, v78
	v_sub_f16_e32 v56, v40, v28
	;; [unrolled: 1-line block ×3, first 2 shown]
	v_lshrrev_b32_e32 v67, 16, v31
	s_waitcnt lgkmcnt(0)
	v_lshrrev_b32_e32 v74, 16, v36
	v_fma_f16 v38, v57, v77, -v38
	v_fma_f16 v57, v21, 2.0, -v55
	v_fma_f16 v68, v40, 2.0, -v56
	v_sub_f16_e32 v29, v46, v29
	v_fma_f16 v73, v22, 2.0, -v71
	v_sub_f16_e32 v22, v36, v53
	v_lshrrev_b32_e32 v69, 16, v32
	v_fma_f16 v75, v46, 2.0, -v29
	v_sub_f16_e32 v77, v31, v47
	v_sub_f16_e32 v30, v67, v30
	;; [unrolled: 1-line block ×3, first 2 shown]
	v_fma_f16 v21, v36, 2.0, -v22
	v_pack_b32_f16 v36, v57, v68
	v_pack_b32_f16 v37, v55, v56
	v_lshrrev_b32_e32 v72, 16, v35
	v_fma_f16 v31, v31, 2.0, -v77
	v_fma_f16 v67, v67, 2.0, -v30
	v_sub_f16_e32 v51, v32, v51
	v_sub_f16_e32 v33, v69, v33
	s_barrier
	ds_write2_b32 v58, v36, v37 offset1:17
	v_pack_b32_f16 v36, v73, v75
	v_pack_b32_f16 v29, v71, v29
	v_fma_f16 v32, v32, 2.0, -v51
	v_fma_f16 v69, v69, 2.0, -v33
	v_sub_f16_e32 v52, v35, v52
	v_sub_f16_e32 v34, v72, v34
	ds_write2_b32 v59, v36, v29 offset1:17
	v_pack_b32_f16 v29, v31, v67
	v_pack_b32_f16 v30, v77, v30
	v_lshrrev_b32_e32 v76, 16, v27
	v_fma_f16 v35, v35, 2.0, -v52
	v_fma_f16 v72, v72, 2.0, -v34
	ds_write2_b32 v60, v29, v30 offset1:17
	v_pack_b32_f16 v29, v32, v69
	v_pack_b32_f16 v30, v51, v33
	v_fma_f16 v40, v74, 2.0, -v45
	v_sub_f16_e32 v28, v27, v54
	v_sub_f16_e32 v46, v76, v38
	ds_write2_b32 v61, v29, v30 offset1:17
	v_pack_b32_f16 v29, v35, v72
	v_pack_b32_f16 v30, v52, v34
	v_fma_f16 v27, v27, 2.0, -v28
	v_fma_f16 v47, v76, 2.0, -v46
	ds_write2_b32 v62, v29, v30 offset1:17
	v_pack_b32_f16 v29, v21, v40
	v_pack_b32_f16 v30, v22, v45
	ds_write2_b32 v63, v29, v30 offset1:17
	v_pack_b32_f16 v29, v27, v47
	v_pack_b32_f16 v30, v28, v46
	v_add_u32_e32 v31, 0x200, v48
	ds_write2_b32 v64, v29, v30 offset1:17
	s_waitcnt lgkmcnt(0)
	s_barrier
	ds_read2_b32 v[29:30], v48 offset1:85
	ds_read2_b32 v[37:38], v31 offset0:110 offset1:195
	ds_read2_b32 v[33:34], v39 offset0:92 offset1:177
	v_add_u32_e32 v39, 0xa00, v48
	ds_read2_b32 v[35:36], v39 offset0:74 offset1:159
	ds_read2_b32 v[31:32], v70 offset0:56 offset1:141
	s_and_saveexec_b64 s[4:5], s[2:3]
	s_cbranch_execz .LBB0_19
; %bb.18:
	v_add_u32_e32 v21, 0x280, v48
	ds_read2_b32 v[27:28], v39 offset0:6 offset1:244
	ds_read2_b32 v[21:22], v21 offset0:10 offset1:248
	ds_read_b32 v83, v48 offset:4488
	s_waitcnt lgkmcnt(2)
	v_lshrrev_b32_e32 v47, 16, v27
	s_waitcnt lgkmcnt(1)
	v_lshrrev_b32_e32 v40, 16, v21
	v_lshrrev_b32_e32 v45, 16, v22
	;; [unrolled: 1-line block ×3, first 2 shown]
	s_waitcnt lgkmcnt(0)
	v_lshrrev_b32_e32 v84, 16, v83
.LBB0_19:
	s_or_b64 exec, exec, s[4:5]
	s_waitcnt lgkmcnt(3)
	v_lshrrev_b32_e32 v52, 16, v37
	v_mul_f16_sdwa v61, v4, v52 dst_sel:DWORD dst_unused:UNUSED_PAD src0_sel:WORD_1 src1_sel:DWORD
	s_waitcnt lgkmcnt(2)
	v_lshrrev_b32_e32 v53, 16, v33
	v_fma_f16 v61, v4, v37, v61
	v_mul_f16_sdwa v37, v4, v37 dst_sel:DWORD dst_unused:UNUSED_PAD src0_sel:WORD_1 src1_sel:DWORD
	v_fma_f16 v4, v4, v52, -v37
	v_mul_f16_sdwa v37, v5, v53 dst_sel:DWORD dst_unused:UNUSED_PAD src0_sel:WORD_1 src1_sel:DWORD
	s_waitcnt lgkmcnt(1)
	v_lshrrev_b32_e32 v54, 16, v35
	v_fma_f16 v37, v5, v33, v37
	v_mul_f16_sdwa v33, v5, v33 dst_sel:DWORD dst_unused:UNUSED_PAD src0_sel:WORD_1 src1_sel:DWORD
	v_fma_f16 v5, v5, v53, -v33
	;; [unrolled: 6-line block ×3, first 2 shown]
	v_mul_f16_sdwa v35, v7, v55 dst_sel:DWORD dst_unused:UNUSED_PAD src0_sel:WORD_1 src1_sel:DWORD
	v_lshrrev_b32_e32 v57, 16, v38
	v_fma_f16 v35, v7, v31, v35
	v_mul_f16_sdwa v31, v7, v31 dst_sel:DWORD dst_unused:UNUSED_PAD src0_sel:WORD_1 src1_sel:DWORD
	v_fma_f16 v7, v7, v55, -v31
	v_mul_f16_sdwa v31, v8, v57 dst_sel:DWORD dst_unused:UNUSED_PAD src0_sel:WORD_1 src1_sel:DWORD
	v_lshrrev_b32_e32 v58, 16, v34
	v_fma_f16 v31, v8, v38, v31
	v_mul_f16_sdwa v38, v8, v38 dst_sel:DWORD dst_unused:UNUSED_PAD src0_sel:WORD_1 src1_sel:DWORD
	v_fma_f16 v8, v8, v57, -v38
	;; [unrolled: 5-line block ×3, first 2 shown]
	v_mul_f16_sdwa v34, v10, v59 dst_sel:DWORD dst_unused:UNUSED_PAD src0_sel:WORD_1 src1_sel:DWORD
	v_add_f16_e32 v52, v37, v33
	v_lshrrev_b32_e32 v60, 16, v32
	v_fma_f16 v34, v10, v36, v34
	v_mul_f16_sdwa v36, v10, v36 dst_sel:DWORD dst_unused:UNUSED_PAD src0_sel:WORD_1 src1_sel:DWORD
	v_fma_f16 v52, v52, -0.5, v29
	v_sub_f16_e32 v53, v4, v7
	s_mov_b32 s14, 0xbb9c
	s_movk_i32 s17, 0x3b9c
	v_fma_f16 v10, v10, v59, -v36
	v_mul_f16_sdwa v36, v11, v60 dst_sel:DWORD dst_unused:UNUSED_PAD src0_sel:WORD_1 src1_sel:DWORD
	v_fma_f16 v54, v53, s14, v52
	v_sub_f16_e32 v55, v5, v6
	s_mov_b32 s15, 0xb8b4
	v_sub_f16_e32 v57, v61, v37
	v_sub_f16_e32 v58, v35, v33
	v_fma_f16 v52, v53, s17, v52
	s_movk_i32 s18, 0x38b4
	v_fma_f16 v36, v11, v32, v36
	v_mul_f16_sdwa v32, v11, v32 dst_sel:DWORD dst_unused:UNUSED_PAD src0_sel:WORD_1 src1_sel:DWORD
	v_fma_f16 v54, v55, s15, v54
	v_add_f16_e32 v57, v57, v58
	s_movk_i32 s16, 0x34f2
	v_fma_f16 v52, v55, s18, v52
	v_fma_f16 v11, v11, v60, -v32
	v_add_f16_e32 v32, v29, v61
	v_fma_f16 v54, v57, s16, v54
	v_fma_f16 v52, v57, s16, v52
	v_add_f16_e32 v57, v61, v35
	v_lshrrev_b32_e32 v51, 16, v29
	v_add_f16_e32 v32, v32, v37
	v_fma_f16 v29, v57, -0.5, v29
	v_add_f16_e32 v32, v32, v33
	v_fma_f16 v57, v55, s17, v29
	v_sub_f16_e32 v58, v37, v61
	v_sub_f16_e32 v59, v33, v35
	v_fma_f16 v29, v55, s14, v29
	v_add_f16_e32 v55, v5, v6
	v_add_f16_e32 v32, v32, v35
	v_fma_f16 v57, v53, s15, v57
	v_add_f16_e32 v58, v58, v59
	v_fma_f16 v29, v53, s18, v29
	v_fma_f16 v55, v55, -0.5, v51
	v_sub_f16_e32 v35, v61, v35
	v_fma_f16 v57, v58, s16, v57
	v_fma_f16 v29, v58, s16, v29
	;; [unrolled: 1-line block ×3, first 2 shown]
	v_sub_f16_e32 v33, v37, v33
	v_fma_f16 v37, v33, s18, v58
	v_sub_f16_e32 v58, v4, v5
	v_sub_f16_e32 v59, v7, v6
	v_fma_f16 v55, v35, s14, v55
	v_add_f16_e32 v53, v51, v4
	v_add_f16_e32 v58, v58, v59
	v_fma_f16 v55, v33, s15, v55
	v_add_f16_e32 v53, v53, v5
	v_fma_f16 v37, v58, s16, v37
	v_fma_f16 v55, v58, s16, v55
	v_add_f16_e32 v58, v4, v7
	v_add_f16_e32 v53, v53, v6
	v_fma_f16 v51, v58, -0.5, v51
	v_add_f16_e32 v53, v53, v7
	v_fma_f16 v58, v33, s14, v51
	v_sub_f16_e32 v4, v5, v4
	v_sub_f16_e32 v5, v6, v7
	v_add_f16_e32 v7, v38, v34
	v_fma_f16 v58, v35, s18, v58
	v_add_f16_e32 v4, v4, v5
	v_fma_f16 v6, v33, s17, v51
	v_fma_f16 v7, v7, -0.5, v30
	v_sub_f16_e32 v33, v8, v11
	v_fma_f16 v5, v4, s16, v58
	v_fma_f16 v6, v35, s15, v6
	;; [unrolled: 1-line block ×3, first 2 shown]
	v_sub_f16_e32 v51, v9, v10
	v_sub_f16_e32 v58, v31, v38
	;; [unrolled: 1-line block ×3, first 2 shown]
	v_fma_f16 v7, v33, s17, v7
	v_fma_f16 v35, v51, s15, v35
	v_add_f16_e32 v58, v58, v59
	v_fma_f16 v7, v51, s18, v7
	v_fma_f16 v35, v58, s16, v35
	;; [unrolled: 1-line block ×3, first 2 shown]
	v_add_f16_e32 v58, v31, v36
	v_lshrrev_b32_e32 v56, 16, v30
	v_fma_f16 v4, v4, s16, v6
	v_add_f16_e32 v6, v30, v31
	v_fma_f16 v30, v58, -0.5, v30
	v_add_f16_e32 v6, v6, v38
	v_fma_f16 v58, v51, s17, v30
	v_sub_f16_e32 v59, v38, v31
	v_sub_f16_e32 v60, v34, v36
	v_fma_f16 v30, v51, s14, v30
	v_add_f16_e32 v51, v9, v10
	v_add_f16_e32 v6, v6, v34
	v_fma_f16 v58, v33, s15, v58
	v_add_f16_e32 v59, v59, v60
	v_fma_f16 v30, v33, s18, v30
	v_fma_f16 v51, v51, -0.5, v56
	v_sub_f16_e32 v31, v31, v36
	v_add_f16_e32 v6, v6, v36
	v_fma_f16 v58, v59, s16, v58
	v_fma_f16 v30, v59, s16, v30
	;; [unrolled: 1-line block ×3, first 2 shown]
	v_sub_f16_e32 v34, v38, v34
	v_sub_f16_e32 v38, v8, v9
	;; [unrolled: 1-line block ×3, first 2 shown]
	v_fma_f16 v51, v31, s14, v51
	v_fma_f16 v36, v34, s18, v36
	v_add_f16_e32 v38, v38, v59
	v_fma_f16 v51, v34, s15, v51
	v_add_f16_e32 v33, v56, v8
	v_fma_f16 v36, v38, s16, v36
	v_fma_f16 v38, v38, s16, v51
	v_add_f16_e32 v51, v8, v11
	v_add_f16_e32 v33, v33, v9
	v_fma_f16 v51, v51, -0.5, v56
	v_add_f16_e32 v33, v33, v10
	v_fma_f16 v56, v34, s14, v51
	v_sub_f16_e32 v8, v9, v8
	v_sub_f16_e32 v9, v10, v11
	v_fma_f16 v10, v34, s17, v51
	v_pack_b32_f16 v5, v57, v5
	v_pack_b32_f16 v4, v29, v4
	v_add_f16_e32 v33, v33, v11
	v_fma_f16 v56, v31, s18, v56
	v_add_f16_e32 v8, v8, v9
	v_fma_f16 v10, v31, s15, v10
	s_barrier
	ds_write2_b32 v65, v5, v4 offset0:68 offset1:102
	v_pack_b32_f16 v4, v52, v55
	v_fma_f16 v9, v8, s16, v56
	v_fma_f16 v8, v8, s16, v10
	v_pack_b32_f16 v10, v32, v53
	v_pack_b32_f16 v11, v54, v37
	ds_write_b32 v65, v4 offset:544
	v_pack_b32_f16 v4, v6, v33
	v_pack_b32_f16 v5, v35, v36
	ds_write2_b32 v65, v10, v11 offset1:34
	ds_write2_b32 v66, v4, v5 offset1:34
	v_pack_b32_f16 v4, v58, v9
	v_pack_b32_f16 v5, v30, v8
	v_add_u32_e32 v39, 0x154, v43
	ds_write2_b32 v66, v4, v5 offset0:68 offset1:102
	v_pack_b32_f16 v4, v7, v38
	ds_write_b32 v66, v4 offset:544
	s_and_saveexec_b64 s[4:5], s[2:3]
	s_cbranch_execz .LBB0_21
; %bb.20:
	v_mul_f16_sdwa v4, v1, v27 dst_sel:DWORD dst_unused:UNUSED_PAD src0_sel:WORD_1 src1_sel:DWORD
	v_mul_f16_sdwa v5, v0, v22 dst_sel:DWORD dst_unused:UNUSED_PAD src0_sel:WORD_1 src1_sel:DWORD
	;; [unrolled: 1-line block ×4, first 2 shown]
	v_fma_f16 v4, v1, v47, -v4
	v_fma_f16 v5, v0, v45, -v5
	;; [unrolled: 1-line block ×4, first 2 shown]
	v_sub_f16_e32 v6, v4, v5
	v_sub_f16_e32 v9, v7, v8
	v_add_f16_e32 v6, v9, v6
	v_mul_f16_sdwa v9, v1, v47 dst_sel:DWORD dst_unused:UNUSED_PAD src0_sel:WORD_1 src1_sel:DWORD
	v_fma_f16 v1, v1, v27, v9
	v_mul_f16_sdwa v9, v2, v46 dst_sel:DWORD dst_unused:UNUSED_PAD src0_sel:WORD_1 src1_sel:DWORD
	v_mul_f16_sdwa v27, v0, v45 dst_sel:DWORD dst_unused:UNUSED_PAD src0_sel:WORD_1 src1_sel:DWORD
	v_fma_f16 v2, v2, v28, v9
	v_add_f16_e32 v10, v8, v5
	v_fma_f16 v0, v0, v22, v27
	v_mul_f16_sdwa v22, v3, v84 dst_sel:DWORD dst_unused:UNUSED_PAD src0_sel:WORD_1 src1_sel:DWORD
	v_sub_f16_e32 v9, v1, v2
	v_fma_f16 v10, v10, -0.5, v40
	v_fma_f16 v3, v3, v83, v22
	v_fma_f16 v11, v9, s17, v10
	v_sub_f16_e32 v22, v0, v3
	v_add_f16_e32 v29, v3, v0
	v_fma_f16 v10, v9, s14, v10
	v_fma_f16 v11, v22, s15, v11
	v_sub_f16_e32 v27, v1, v0
	v_sub_f16_e32 v28, v2, v3
	v_fma_f16 v29, v29, -0.5, v21
	v_sub_f16_e32 v30, v4, v7
	v_fma_f16 v10, v22, s18, v10
	v_fma_f16 v11, v6, s16, v11
	v_add_f16_e32 v27, v28, v27
	v_sub_f16_e32 v28, v5, v8
	v_fma_f16 v31, v30, s14, v29
	v_fma_f16 v6, v6, s16, v10
	;; [unrolled: 1-line block ×7, first 2 shown]
	v_sub_f16_e32 v27, v5, v4
	v_sub_f16_e32 v29, v8, v7
	;; [unrolled: 1-line block ×4, first 2 shown]
	v_add_f16_e32 v27, v29, v27
	v_add_f16_e32 v29, v7, v4
	;; [unrolled: 1-line block ×5, first 2 shown]
	v_fma_f16 v29, v29, -0.5, v40
	v_fma_f16 v34, v34, -0.5, v21
	v_add_f16_e32 v5, v5, v40
	v_add_f16_e32 v0, v1, v0
	v_fma_f16 v32, v22, s17, v29
	v_fma_f16 v35, v28, s14, v34
	v_add_f16_e32 v4, v4, v5
	v_add_f16_e32 v0, v2, v0
	v_fma_f16 v32, v9, s18, v32
	v_fma_f16 v35, v30, s15, v35
	v_add_f16_e32 v4, v7, v4
	v_add_f16_e32 v0, v3, v0
	v_mul_u32_u24_e32 v3, 0xaa, v49
	v_fma_f16 v32, v27, s16, v32
	v_fma_f16 v35, v33, s16, v35
	v_add_f16_e32 v4, v8, v4
	v_fma_f16 v1, v22, s14, v29
	v_fma_f16 v2, v28, s17, v34
	v_add_u32_sdwa v3, v3, v50 dst_sel:DWORD dst_unused:UNUSED_PAD src0_sel:DWORD src1_sel:BYTE_0
	v_fma_f16 v1, v9, s15, v1
	v_fma_f16 v2, v30, s18, v2
	v_lshl_add_u32 v3, v3, 2, v44
	v_pack_b32_f16 v0, v0, v4
	v_pack_b32_f16 v4, v35, v32
	v_fma_f16 v1, v27, s16, v1
	v_fma_f16 v2, v33, s16, v2
	ds_write2_b32 v3, v0, v4 offset1:34
	v_pack_b32_f16 v0, v10, v6
	v_pack_b32_f16 v4, v31, v11
	ds_write2_b32 v3, v0, v4 offset0:68 offset1:102
	v_pack_b32_f16 v0, v2, v1
	ds_write_b32 v3, v0 offset:544
.LBB0_21:
	s_or_b64 exec, exec, s[4:5]
	s_waitcnt lgkmcnt(0)
	s_barrier
	ds_read2_b32 v[0:1], v48 offset0:170 offset1:255
	ds_read2_b32 v[2:3], v48 offset1:85
	v_add_u32_e32 v4, 0x400, v48
	ds_read2_b32 v[4:5], v4 offset0:84 offset1:169
	v_add_u32_e32 v6, 0x600, v48
	ds_read2_b32 v[6:7], v6 offset0:126 offset1:211
	s_waitcnt lgkmcnt(3)
	v_lshrrev_b32_e32 v27, 16, v0
	v_add_u32_e32 v8, 0x800, v48
	ds_read2_b32 v[8:9], v8 offset0:168 offset1:253
	v_mul_f16_sdwa v40, v12, v27 dst_sel:DWORD dst_unused:UNUSED_PAD src0_sel:WORD_1 src1_sel:DWORD
	v_add_u32_e32 v10, 0xc00, v48
	s_waitcnt lgkmcnt(2)
	v_lshrrev_b32_e32 v28, 16, v4
	v_fma_f16 v40, v12, v0, v40
	v_mul_f16_sdwa v0, v12, v0 dst_sel:DWORD dst_unused:UNUSED_PAD src0_sel:WORD_1 src1_sel:DWORD
	ds_read2_b32 v[10:11], v10 offset0:82 offset1:167
	v_fma_f16 v0, v12, v27, -v0
	v_mul_f16_sdwa v12, v13, v28 dst_sel:DWORD dst_unused:UNUSED_PAD src0_sel:WORD_1 src1_sel:DWORD
	v_add_u32_e32 v21, 0xe00, v48
	s_waitcnt lgkmcnt(2)
	v_lshrrev_b32_e32 v29, 16, v6
	v_fma_f16 v12, v13, v4, v12
	v_mul_f16_sdwa v4, v13, v4 dst_sel:DWORD dst_unused:UNUSED_PAD src0_sel:WORD_1 src1_sel:DWORD
	ds_read2_b32 v[21:22], v21 offset0:124 offset1:209
	v_fma_f16 v4, v13, v28, -v4
	v_mul_f16_sdwa v13, v14, v29 dst_sel:DWORD dst_unused:UNUSED_PAD src0_sel:WORD_1 src1_sel:DWORD
	s_waitcnt lgkmcnt(2)
	v_lshrrev_b32_e32 v30, 16, v8
	v_fma_f16 v13, v14, v6, v13
	v_mul_f16_sdwa v6, v14, v6 dst_sel:DWORD dst_unused:UNUSED_PAD src0_sel:WORD_1 src1_sel:DWORD
	v_fma_f16 v6, v14, v29, -v6
	v_mul_f16_sdwa v14, v15, v30 dst_sel:DWORD dst_unused:UNUSED_PAD src0_sel:WORD_1 src1_sel:DWORD
	s_waitcnt lgkmcnt(1)
	v_lshrrev_b32_e32 v31, 16, v10
	v_fma_f16 v14, v15, v8, v14
	v_mul_f16_sdwa v8, v15, v8 dst_sel:DWORD dst_unused:UNUSED_PAD src0_sel:WORD_1 src1_sel:DWORD
	;; [unrolled: 6-line block ×3, first 2 shown]
	v_fma_f16 v10, v23, v31, -v10
	v_mul_f16_sdwa v23, v24, v32 dst_sel:DWORD dst_unused:UNUSED_PAD src0_sel:WORD_1 src1_sel:DWORD
	v_lshrrev_b32_e32 v33, 16, v1
	v_fma_f16 v23, v24, v21, v23
	v_mul_f16_sdwa v21, v24, v21 dst_sel:DWORD dst_unused:UNUSED_PAD src0_sel:WORD_1 src1_sel:DWORD
	v_fma_f16 v21, v24, v32, -v21
	v_mul_f16_sdwa v24, v16, v33 dst_sel:DWORD dst_unused:UNUSED_PAD src0_sel:WORD_1 src1_sel:DWORD
	v_lshrrev_b32_e32 v34, 16, v5
	v_fma_f16 v24, v16, v1, v24
	v_mul_f16_sdwa v1, v16, v1 dst_sel:DWORD dst_unused:UNUSED_PAD src0_sel:WORD_1 src1_sel:DWORD
	;; [unrolled: 5-line block ×6, first 2 shown]
	v_fma_f16 v11, v25, v37, -v11
	v_mul_f16_sdwa v25, v26, v38 dst_sel:DWORD dst_unused:UNUSED_PAD src0_sel:WORD_1 src1_sel:DWORD
	v_fma_f16 v25, v26, v22, v25
	v_mul_f16_sdwa v22, v26, v22 dst_sel:DWORD dst_unused:UNUSED_PAD src0_sel:WORD_1 src1_sel:DWORD
	v_fma_f16 v22, v26, v38, -v22
	v_add_f16_e32 v26, v40, v23
	v_add_f16_e32 v27, v0, v21
	v_sub_f16_e32 v0, v0, v21
	v_add_f16_e32 v21, v12, v15
	v_add_f16_e32 v28, v4, v10
	v_sub_f16_e32 v23, v40, v23
	v_sub_f16_e32 v12, v12, v15
	;; [unrolled: 1-line block ×3, first 2 shown]
	v_add_f16_e32 v10, v13, v14
	v_add_f16_e32 v15, v6, v8
	v_sub_f16_e32 v13, v14, v13
	v_sub_f16_e32 v6, v8, v6
	v_add_f16_e32 v8, v21, v26
	v_add_f16_e32 v14, v28, v27
	v_sub_f16_e32 v29, v21, v26
	v_sub_f16_e32 v30, v28, v27
	v_sub_f16_e32 v26, v26, v10
	v_sub_f16_e32 v27, v27, v15
	v_sub_f16_e32 v21, v10, v21
	v_sub_f16_e32 v28, v15, v28
	v_add_f16_e32 v31, v13, v12
	v_add_f16_e32 v32, v6, v4
	v_sub_f16_e32 v33, v13, v12
	v_sub_f16_e32 v34, v6, v4
	;; [unrolled: 1-line block ×4, first 2 shown]
	v_add_f16_e32 v8, v10, v8
	v_add_f16_e32 v10, v15, v14
	v_sub_f16_e32 v13, v23, v13
	v_sub_f16_e32 v6, v0, v6
	v_add_f16_e32 v14, v31, v23
	v_add_f16_e32 v0, v32, v0
	;; [unrolled: 1-line block ×3, first 2 shown]
	v_add_f16_sdwa v2, v2, v10 dst_sel:DWORD dst_unused:UNUSED_PAD src0_sel:WORD_1 src1_sel:DWORD
	v_mul_f16_e32 v23, 0x3a52, v26
	v_mul_f16_e32 v26, 0x3a52, v27
	s_movk_i32 s2, 0x2b26
	v_mul_f16_e32 v27, 0x2b26, v21
	v_mul_f16_e32 v31, 0x2b26, v28
	v_mul_f16_e32 v32, 0x3846, v33
	v_mul_f16_e32 v33, 0x3846, v34
	s_mov_b32 s3, 0xbb00
	v_mul_f16_e32 v34, 0xbb00, v12
	v_mul_f16_e32 v35, 0xbb00, v4
	s_mov_b32 s4, 0xbcab
	s_movk_i32 s5, 0x39e0
	s_mov_b32 s14, 0xb9e0
	s_mov_b32 s15, 0xb574
	s_movk_i32 s16, 0x3574
	v_fma_f16 v8, v8, s4, v15
	v_fma_f16 v10, v10, s4, v2
	;; [unrolled: 1-line block ×4, first 2 shown]
	v_fma_f16 v27, v29, s5, -v27
	v_fma_f16 v31, v30, s5, -v31
	;; [unrolled: 1-line block ×4, first 2 shown]
	v_fma_f16 v29, v13, s15, v32
	v_fma_f16 v30, v6, s15, v33
	v_fma_f16 v4, v4, s3, -v33
	v_fma_f16 v13, v13, s16, -v34
	;; [unrolled: 1-line block ×3, first 2 shown]
	s_mov_b32 s17, 0xb70e
	v_fma_f16 v12, v12, s3, -v32
	v_add_f16_e32 v21, v21, v8
	v_add_f16_e32 v28, v28, v10
	;; [unrolled: 1-line block ×6, first 2 shown]
	v_fma_f16 v23, v14, s17, v29
	v_fma_f16 v26, v0, s17, v30
	;; [unrolled: 1-line block ×6, first 2 shown]
	v_add_f16_e32 v6, v26, v21
	v_sub_f16_e32 v14, v28, v23
	v_add_f16_e32 v29, v0, v8
	v_sub_f16_e32 v30, v10, v13
	v_sub_f16_e32 v0, v8, v0
	v_add_f16_e32 v8, v13, v10
	v_sub_f16_e32 v10, v21, v26
	v_add_f16_e32 v13, v23, v28
	v_add_f16_e32 v21, v24, v25
	;; [unrolled: 1-line block ×3, first 2 shown]
	v_sub_f16_e32 v24, v24, v25
	v_sub_f16_e32 v1, v1, v22
	v_add_f16_e32 v22, v16, v19
	v_add_f16_e32 v25, v5, v11
	v_sub_f16_e32 v16, v16, v19
	v_sub_f16_e32 v5, v5, v11
	v_add_f16_e32 v11, v17, v18
	v_add_f16_e32 v19, v7, v9
	;; [unrolled: 4-line block ×3, first 2 shown]
	v_sub_f16_e32 v32, v27, v4
	v_add_f16_e32 v33, v12, v31
	v_add_f16_e32 v4, v4, v27
	v_sub_f16_e32 v12, v31, v12
	v_sub_f16_e32 v26, v22, v21
	;; [unrolled: 1-line block ×7, first 2 shown]
	v_add_f16_e32 v28, v17, v16
	v_add_f16_e32 v31, v7, v5
	v_sub_f16_e32 v34, v17, v16
	v_sub_f16_e32 v35, v7, v5
	;; [unrolled: 1-line block ×3, first 2 shown]
	v_add_f16_e32 v9, v11, v9
	v_add_f16_e32 v11, v19, v18
	v_sub_f16_e32 v17, v24, v17
	v_sub_f16_e32 v7, v1, v7
	;; [unrolled: 1-line block ×3, first 2 shown]
	v_add_f16_e32 v18, v28, v24
	v_add_f16_e32 v1, v31, v1
	;; [unrolled: 1-line block ×3, first 2 shown]
	v_add_f16_sdwa v3, v3, v11 dst_sel:DWORD dst_unused:UNUSED_PAD src0_sel:WORD_1 src1_sel:DWORD
	v_mul_f16_e32 v21, 0x3a52, v21
	v_mul_f16_e32 v23, 0x3a52, v23
	;; [unrolled: 1-line block ×7, first 2 shown]
	v_fma_f16 v9, v9, s4, v19
	v_fma_f16 v11, v11, s4, v3
	;; [unrolled: 1-line block ×4, first 2 shown]
	v_fma_f16 v24, v26, s5, -v24
	v_fma_f16 v28, v27, s5, -v28
	;; [unrolled: 1-line block ×4, first 2 shown]
	v_fma_f16 v27, v7, s15, v34
	v_fma_f16 v5, v5, s3, -v34
	v_fma_f16 v7, v7, s16, -v36
	v_fma_f16 v26, v17, s15, v31
	v_add_f16_e32 v22, v22, v9
	v_add_f16_e32 v25, v25, v11
	;; [unrolled: 1-line block ×6, first 2 shown]
	v_fma_f16 v23, v1, s17, v27
	v_fma_f16 v5, v1, s17, v5
	;; [unrolled: 1-line block ×4, first 2 shown]
	v_add_f16_e32 v26, v1, v9
	v_sub_f16_e32 v9, v9, v1
	v_pack_b32_f16 v1, v15, v2
	v_mul_f16_e32 v35, 0xbb00, v16
	ds_write_b32 v43, v1
	v_pack_b32_f16 v2, v6, v14
	v_pack_b32_f16 v6, v29, v30
	;; [unrolled: 1-line block ×3, first 2 shown]
	v_add_u32_e32 v1, 0x400, v43
	v_fma_f16 v17, v17, s16, -v35
	ds_write2_b32 v1, v6, v14 offset0:84 offset1:254
	v_pack_b32_f16 v4, v4, v12
	v_pack_b32_f16 v0, v0, v8
	v_add_u32_e32 v6, 0xa00, v43
	v_fma_f16 v16, v16, s3, -v31
	v_fma_f16 v17, v18, s17, v17
	ds_write2_b32 v6, v4, v0 offset0:40 offset1:210
	v_pack_b32_f16 v0, v10, v13
	v_fma_f16 v16, v18, s17, v16
	v_add_f16_e32 v7, v23, v22
	v_sub_f16_e32 v18, v25, v21
	v_sub_f16_e32 v27, v11, v17
	ds_write_b32 v43, v0 offset:4080
	v_pack_b32_f16 v0, v19, v3
	v_sub_f16_e32 v31, v24, v5
	v_add_f16_e32 v34, v16, v28
	v_add_f16_e32 v5, v5, v24
	v_sub_f16_e32 v16, v28, v16
	ds_write2_b32 v43, v0, v2 offset0:85 offset1:170
	v_pack_b32_f16 v0, v7, v18
	v_pack_b32_f16 v2, v26, v27
	v_add_u32_e32 v3, 0x200, v39
	v_add_f16_e32 v11, v17, v11
	v_sub_f16_e32 v17, v22, v23
	v_add_f16_e32 v21, v21, v25
	ds_write2_b32 v3, v0, v2 offset0:42 offset1:212
	v_pack_b32_f16 v0, v31, v34
	v_pack_b32_f16 v2, v5, v16
	v_add_u32_e32 v3, 0x700, v39
	ds_write2_b32 v3, v0, v2 offset0:62 offset1:232
	v_pack_b32_f16 v0, v9, v11
	v_pack_b32_f16 v2, v17, v21
	v_add_u32_e32 v3, 0xc00, v39
	ds_write2_b32 v3, v0, v2 offset0:82 offset1:252
	s_waitcnt lgkmcnt(0)
	s_barrier
	s_and_b64 exec, exec, s[0:1]
	s_cbranch_execz .LBB0_23
; %bb.22:
	global_load_dword v9, v41, s[6:7]
	v_mad_u64_u32 v[2:3], s[0:1], s10, v20, 0
	v_mad_u64_u32 v[4:5], s[0:1], s8, v42, 0
	ds_read_b32 v10, v43
	s_mov_b32 s14, 0x1b89401c
	v_mad_u64_u32 v[6:7], s[0:1], s11, v20, v[3:4]
	s_mov_b32 s15, 0x3f4b8940
	v_mov_b32_e32 v11, s13
	v_mad_u64_u32 v[7:8], s[0:1], s9, v42, v[5:6]
	s_waitcnt lgkmcnt(0)
	v_lshrrev_b32_e32 v8, 16, v10
	v_mov_b32_e32 v3, v6
	v_mov_b32_e32 v5, v7
	v_lshlrev_b64 v[2:3], 2, v[2:3]
	v_lshlrev_b64 v[4:5], 2, v[4:5]
	s_movk_i32 s16, 0x1ff
	s_movk_i32 s10, 0xffe
	v_mov_b32_e32 v0, 0x7c00
	s_movk_i32 s18, 0x40f
	s_mov_b32 s17, 0x8000
	s_waitcnt vmcnt(0)
	v_mul_f16_sdwa v6, v8, v9 dst_sel:DWORD dst_unused:UNUSED_PAD src0_sel:DWORD src1_sel:WORD_1
	v_fma_f16 v6, v10, v9, v6
	v_mul_f16_sdwa v7, v10, v9 dst_sel:DWORD dst_unused:UNUSED_PAD src0_sel:DWORD src1_sel:WORD_1
	v_cvt_f32_f16_e32 v6, v6
	v_fma_f16 v7, v9, v8, -v7
	v_cvt_f32_f16_e32 v8, v7
	v_add_co_u32_e32 v10, vcc, s12, v2
	v_cvt_f64_f32_e32 v[6:7], v6
	v_cvt_f64_f32_e32 v[8:9], v8
	v_addc_co_u32_e32 v11, vcc, v11, v3, vcc
	v_mul_f64 v[6:7], v[6:7], s[14:15]
	v_mul_f64 v[2:3], v[8:9], s[14:15]
	v_add_co_u32_e32 v4, vcc, v10, v4
	v_addc_co_u32_e32 v5, vcc, v11, v5, vcc
	v_and_or_b32 v6, v7, s16, v6
	v_and_or_b32 v2, v3, s16, v2
	v_cmp_ne_u32_e32 vcc, 0, v6
	v_lshrrev_b32_e32 v8, 8, v7
	v_bfe_u32 v9, v7, 20, 11
	v_cndmask_b32_e64 v6, 0, 1, vcc
	v_cmp_ne_u32_e32 vcc, 0, v2
	v_lshrrev_b32_e32 v10, 8, v3
	v_bfe_u32 v11, v3, 20, 11
	v_sub_u32_e32 v12, 0x3f1, v9
	v_cndmask_b32_e64 v2, 0, 1, vcc
	v_and_or_b32 v6, v8, s10, v6
	v_sub_u32_e32 v13, 0x3f1, v11
	v_med3_i32 v8, v12, 0, 13
	v_and_or_b32 v2, v10, s10, v2
	v_or_b32_e32 v12, 0x1000, v6
	v_add_u32_e32 v9, 0xfffffc10, v9
	v_med3_i32 v10, v13, 0, 13
	v_cmp_ne_u32_e32 vcc, 0, v6
	v_or_b32_e32 v14, 0x1000, v2
	v_lshrrev_b32_e32 v16, v8, v12
	v_add_u32_e32 v11, 0xfffffc10, v11
	v_lshl_or_b32 v13, v9, 12, v6
	v_cndmask_b32_e64 v6, 0, 1, vcc
	v_cmp_ne_u32_e32 vcc, 0, v2
	v_lshrrev_b32_e32 v17, v10, v14
	v_lshlrev_b32_e32 v8, v8, v16
	v_lshl_or_b32 v15, v11, 12, v2
	v_cndmask_b32_e64 v2, 0, 1, vcc
	v_lshlrev_b32_e32 v10, v10, v17
	v_cmp_ne_u32_e32 vcc, v8, v12
	v_cndmask_b32_e64 v8, 0, 1, vcc
	v_cmp_ne_u32_e32 vcc, v10, v14
	v_cndmask_b32_e64 v10, 0, 1, vcc
	v_or_b32_e32 v8, v16, v8
	v_cmp_gt_i32_e32 vcc, 1, v9
	v_cndmask_b32_e32 v8, v13, v8, vcc
	v_or_b32_e32 v10, v17, v10
	v_cmp_gt_i32_e32 vcc, 1, v11
	v_and_b32_e32 v12, 7, v8
	v_cndmask_b32_e32 v10, v15, v10, vcc
	v_cmp_lt_i32_e32 vcc, 5, v12
	v_cmp_eq_u32_e64 s[0:1], 3, v12
	v_lshrrev_b32_e32 v8, 2, v8
	v_and_b32_e32 v13, 7, v10
	s_or_b64 vcc, s[0:1], vcc
	v_cmp_lt_i32_e64 s[2:3], 5, v13
	v_cmp_eq_u32_e64 s[4:5], 3, v13
	v_addc_co_u32_e32 v8, vcc, 0, v8, vcc
	v_lshrrev_b32_e32 v10, 2, v10
	s_or_b64 vcc, s[4:5], s[2:3]
	v_addc_co_u32_e32 v10, vcc, 0, v10, vcc
	v_cmp_gt_i32_e32 vcc, 31, v9
	v_cndmask_b32_e32 v8, v0, v8, vcc
	v_cmp_gt_i32_e32 vcc, 31, v11
	v_lshl_or_b32 v6, v6, 9, v0
	v_cndmask_b32_e32 v10, v0, v10, vcc
	v_cmp_eq_u32_e32 vcc, s18, v9
	v_lshrrev_b32_e32 v7, 16, v7
	v_lshl_or_b32 v2, v2, 9, v0
	v_cndmask_b32_e32 v6, v8, v6, vcc
	v_cmp_eq_u32_e32 vcc, s18, v11
	v_lshrrev_b32_e32 v3, 16, v3
	v_cndmask_b32_e32 v2, v10, v2, vcc
	v_and_or_b32 v6, v7, s17, v6
	v_and_or_b32 v2, v3, s17, v2
	v_and_b32_e32 v3, 0xffff, v6
	v_lshl_or_b32 v2, v2, 16, v3
	global_store_dword v[4:5], v2, off
	global_load_dword v6, v41, s[6:7] offset:280
	ds_read2_b32 v[2:3], v43 offset0:70 offset1:140
	s_mul_i32 s0, s9, 0x118
	s_mul_hi_u32 s9, s8, 0x118
	s_mulk_i32 s8, 0x118
	s_add_i32 s9, s9, s0
	s_waitcnt lgkmcnt(0)
	v_lshrrev_b32_e32 v7, 16, v2
	v_add_co_u32_e32 v4, vcc, s8, v4
	s_waitcnt vmcnt(0)
	v_mul_f16_sdwa v8, v7, v6 dst_sel:DWORD dst_unused:UNUSED_PAD src0_sel:DWORD src1_sel:WORD_1
	v_fma_f16 v8, v2, v6, v8
	v_mul_f16_sdwa v2, v2, v6 dst_sel:DWORD dst_unused:UNUSED_PAD src0_sel:DWORD src1_sel:WORD_1
	v_cvt_f32_f16_e32 v8, v8
	v_fma_f16 v2, v6, v7, -v2
	v_cvt_f32_f16_e32 v2, v2
	v_cvt_f64_f32_e32 v[6:7], v8
	v_cvt_f64_f32_e32 v[8:9], v2
	v_mov_b32_e32 v2, s9
	v_mul_f64 v[6:7], v[6:7], s[14:15]
	v_addc_co_u32_e32 v5, vcc, v5, v2, vcc
	v_mul_f64 v[8:9], v[8:9], s[14:15]
	v_and_or_b32 v2, v7, s16, v6
	v_cmp_ne_u32_e32 vcc, 0, v2
	v_lshrrev_b32_e32 v6, 8, v7
	v_and_or_b32 v8, v9, s16, v8
	v_bfe_u32 v10, v7, 20, 11
	v_cndmask_b32_e64 v2, 0, 1, vcc
	v_cmp_ne_u32_e32 vcc, 0, v8
	v_lshrrev_b32_e32 v11, 8, v9
	v_bfe_u32 v12, v9, 20, 11
	v_sub_u32_e32 v13, 0x3f1, v10
	v_cndmask_b32_e64 v8, 0, 1, vcc
	v_and_or_b32 v2, v6, s10, v2
	v_sub_u32_e32 v14, 0x3f1, v12
	v_med3_i32 v6, v13, 0, 13
	v_and_or_b32 v8, v11, s10, v8
	v_or_b32_e32 v13, 0x1000, v2
	v_add_u32_e32 v10, 0xfffffc10, v10
	v_med3_i32 v11, v14, 0, 13
	v_cmp_ne_u32_e32 vcc, 0, v2
	v_or_b32_e32 v15, 0x1000, v8
	v_lshrrev_b32_e32 v17, v6, v13
	v_add_u32_e32 v12, 0xfffffc10, v12
	v_lshl_or_b32 v14, v10, 12, v2
	v_cndmask_b32_e64 v2, 0, 1, vcc
	v_cmp_ne_u32_e32 vcc, 0, v8
	v_lshrrev_b32_e32 v18, v11, v15
	v_lshlrev_b32_e32 v6, v6, v17
	v_lshl_or_b32 v16, v12, 12, v8
	v_cndmask_b32_e64 v8, 0, 1, vcc
	v_lshlrev_b32_e32 v11, v11, v18
	v_cmp_ne_u32_e32 vcc, v6, v13
	v_cndmask_b32_e64 v6, 0, 1, vcc
	v_cmp_ne_u32_e32 vcc, v11, v15
	v_cndmask_b32_e64 v11, 0, 1, vcc
	v_or_b32_e32 v6, v17, v6
	v_cmp_gt_i32_e32 vcc, 1, v10
	v_cndmask_b32_e32 v6, v14, v6, vcc
	v_or_b32_e32 v11, v18, v11
	v_cmp_gt_i32_e32 vcc, 1, v12
	v_and_b32_e32 v13, 7, v6
	v_cndmask_b32_e32 v11, v16, v11, vcc
	v_cmp_lt_i32_e32 vcc, 5, v13
	v_cmp_eq_u32_e64 s[0:1], 3, v13
	v_lshrrev_b32_e32 v6, 2, v6
	v_and_b32_e32 v14, 7, v11
	s_or_b64 vcc, s[0:1], vcc
	v_cmp_lt_i32_e64 s[2:3], 5, v14
	v_cmp_eq_u32_e64 s[4:5], 3, v14
	v_addc_co_u32_e32 v6, vcc, 0, v6, vcc
	v_lshrrev_b32_e32 v11, 2, v11
	s_or_b64 vcc, s[4:5], s[2:3]
	v_addc_co_u32_e32 v11, vcc, 0, v11, vcc
	v_cmp_gt_i32_e32 vcc, 31, v10
	v_cndmask_b32_e32 v6, v0, v6, vcc
	v_cmp_gt_i32_e32 vcc, 31, v12
	v_lshl_or_b32 v2, v2, 9, v0
	v_cndmask_b32_e32 v11, v0, v11, vcc
	v_cmp_eq_u32_e32 vcc, s18, v10
	v_lshrrev_b32_e32 v7, 16, v7
	v_lshl_or_b32 v8, v8, 9, v0
	v_cndmask_b32_e32 v2, v6, v2, vcc
	v_cmp_eq_u32_e32 vcc, s18, v12
	v_lshrrev_b32_e32 v9, 16, v9
	v_cndmask_b32_e32 v6, v11, v8, vcc
	v_and_or_b32 v2, v7, s17, v2
	v_and_or_b32 v6, v9, s17, v6
	v_and_b32_e32 v2, 0xffff, v2
	v_lshl_or_b32 v2, v6, 16, v2
	global_store_dword v[4:5], v2, off
	global_load_dword v2, v41, s[6:7] offset:560
	v_lshrrev_b32_e32 v6, 16, v3
	v_mov_b32_e32 v8, s9
	v_add_co_u32_e32 v4, vcc, s8, v4
	v_addc_co_u32_e32 v5, vcc, v5, v8, vcc
	s_waitcnt vmcnt(0)
	v_mul_f16_sdwa v7, v6, v2 dst_sel:DWORD dst_unused:UNUSED_PAD src0_sel:DWORD src1_sel:WORD_1
	v_fma_f16 v7, v3, v2, v7
	v_mul_f16_sdwa v3, v3, v2 dst_sel:DWORD dst_unused:UNUSED_PAD src0_sel:DWORD src1_sel:WORD_1
	v_cvt_f32_f16_e32 v7, v7
	v_fma_f16 v2, v2, v6, -v3
	v_cvt_f32_f16_e32 v6, v2
	v_cvt_f64_f32_e32 v[2:3], v7
	v_cvt_f64_f32_e32 v[6:7], v6
	v_mul_f64 v[2:3], v[2:3], s[14:15]
	v_mul_f64 v[6:7], v[6:7], s[14:15]
	v_and_or_b32 v2, v3, s16, v2
	v_cmp_ne_u32_e32 vcc, 0, v2
	v_and_or_b32 v6, v7, s16, v6
	v_lshrrev_b32_e32 v8, 8, v3
	v_bfe_u32 v9, v3, 20, 11
	v_cndmask_b32_e64 v2, 0, 1, vcc
	v_cmp_ne_u32_e32 vcc, 0, v6
	v_lshrrev_b32_e32 v10, 8, v7
	v_bfe_u32 v11, v7, 20, 11
	v_sub_u32_e32 v12, 0x3f1, v9
	v_cndmask_b32_e64 v6, 0, 1, vcc
	v_and_or_b32 v2, v8, s10, v2
	v_sub_u32_e32 v13, 0x3f1, v11
	v_med3_i32 v8, v12, 0, 13
	v_and_or_b32 v6, v10, s10, v6
	v_or_b32_e32 v12, 0x1000, v2
	v_add_u32_e32 v9, 0xfffffc10, v9
	v_med3_i32 v10, v13, 0, 13
	v_cmp_ne_u32_e32 vcc, 0, v2
	v_or_b32_e32 v14, 0x1000, v6
	v_lshrrev_b32_e32 v16, v8, v12
	v_add_u32_e32 v11, 0xfffffc10, v11
	v_lshl_or_b32 v13, v9, 12, v2
	v_cndmask_b32_e64 v2, 0, 1, vcc
	v_cmp_ne_u32_e32 vcc, 0, v6
	v_lshrrev_b32_e32 v17, v10, v14
	v_lshlrev_b32_e32 v8, v8, v16
	v_lshl_or_b32 v15, v11, 12, v6
	v_cndmask_b32_e64 v6, 0, 1, vcc
	v_lshlrev_b32_e32 v10, v10, v17
	v_cmp_ne_u32_e32 vcc, v8, v12
	v_cndmask_b32_e64 v8, 0, 1, vcc
	v_cmp_ne_u32_e32 vcc, v10, v14
	v_cndmask_b32_e64 v10, 0, 1, vcc
	v_or_b32_e32 v8, v16, v8
	v_cmp_gt_i32_e32 vcc, 1, v9
	v_cndmask_b32_e32 v8, v13, v8, vcc
	v_or_b32_e32 v10, v17, v10
	v_cmp_gt_i32_e32 vcc, 1, v11
	v_and_b32_e32 v12, 7, v8
	v_cndmask_b32_e32 v10, v15, v10, vcc
	v_cmp_lt_i32_e32 vcc, 5, v12
	v_cmp_eq_u32_e64 s[0:1], 3, v12
	v_lshrrev_b32_e32 v8, 2, v8
	v_and_b32_e32 v13, 7, v10
	s_or_b64 vcc, s[0:1], vcc
	v_cmp_lt_i32_e64 s[2:3], 5, v13
	v_cmp_eq_u32_e64 s[4:5], 3, v13
	v_addc_co_u32_e32 v8, vcc, 0, v8, vcc
	v_lshrrev_b32_e32 v10, 2, v10
	s_or_b64 vcc, s[4:5], s[2:3]
	v_addc_co_u32_e32 v10, vcc, 0, v10, vcc
	v_cmp_gt_i32_e32 vcc, 31, v9
	v_cndmask_b32_e32 v8, v0, v8, vcc
	v_cmp_gt_i32_e32 vcc, 31, v11
	v_lshl_or_b32 v2, v2, 9, v0
	v_cndmask_b32_e32 v10, v0, v10, vcc
	v_cmp_eq_u32_e32 vcc, s18, v9
	v_lshrrev_b32_e32 v3, 16, v3
	v_lshl_or_b32 v6, v6, 9, v0
	v_cndmask_b32_e32 v2, v8, v2, vcc
	v_cmp_eq_u32_e32 vcc, s18, v11
	v_lshrrev_b32_e32 v7, 16, v7
	v_cndmask_b32_e32 v6, v10, v6, vcc
	v_and_or_b32 v2, v3, s17, v2
	v_and_or_b32 v3, v7, s17, v6
	v_and_b32_e32 v2, 0xffff, v2
	v_lshl_or_b32 v2, v3, 16, v2
	global_store_dword v[4:5], v2, off
	global_load_dword v6, v41, s[6:7] offset:840
	v_add_u32_e32 v2, 0x200, v43
	ds_read2_b32 v[2:3], v2 offset0:82 offset1:152
	v_add_co_u32_e32 v4, vcc, s8, v4
	s_waitcnt lgkmcnt(0)
	v_lshrrev_b32_e32 v7, 16, v2
	s_waitcnt vmcnt(0)
	v_mul_f16_sdwa v8, v7, v6 dst_sel:DWORD dst_unused:UNUSED_PAD src0_sel:DWORD src1_sel:WORD_1
	v_fma_f16 v8, v2, v6, v8
	v_mul_f16_sdwa v2, v2, v6 dst_sel:DWORD dst_unused:UNUSED_PAD src0_sel:DWORD src1_sel:WORD_1
	v_cvt_f32_f16_e32 v8, v8
	v_fma_f16 v2, v6, v7, -v2
	v_cvt_f32_f16_e32 v2, v2
	v_cvt_f64_f32_e32 v[6:7], v8
	v_cvt_f64_f32_e32 v[8:9], v2
	v_mov_b32_e32 v2, s9
	v_mul_f64 v[6:7], v[6:7], s[14:15]
	v_addc_co_u32_e32 v5, vcc, v5, v2, vcc
	v_mul_f64 v[8:9], v[8:9], s[14:15]
	v_and_or_b32 v2, v7, s16, v6
	v_cmp_ne_u32_e32 vcc, 0, v2
	v_lshrrev_b32_e32 v6, 8, v7
	v_and_or_b32 v8, v9, s16, v8
	v_bfe_u32 v10, v7, 20, 11
	v_cndmask_b32_e64 v2, 0, 1, vcc
	v_cmp_ne_u32_e32 vcc, 0, v8
	v_lshrrev_b32_e32 v11, 8, v9
	v_bfe_u32 v12, v9, 20, 11
	v_sub_u32_e32 v13, 0x3f1, v10
	v_cndmask_b32_e64 v8, 0, 1, vcc
	v_and_or_b32 v2, v6, s10, v2
	v_sub_u32_e32 v14, 0x3f1, v12
	v_med3_i32 v6, v13, 0, 13
	v_and_or_b32 v8, v11, s10, v8
	v_or_b32_e32 v13, 0x1000, v2
	v_add_u32_e32 v10, 0xfffffc10, v10
	v_med3_i32 v11, v14, 0, 13
	v_cmp_ne_u32_e32 vcc, 0, v2
	v_or_b32_e32 v15, 0x1000, v8
	v_lshrrev_b32_e32 v17, v6, v13
	v_add_u32_e32 v12, 0xfffffc10, v12
	v_lshl_or_b32 v14, v10, 12, v2
	v_cndmask_b32_e64 v2, 0, 1, vcc
	v_cmp_ne_u32_e32 vcc, 0, v8
	v_lshrrev_b32_e32 v18, v11, v15
	v_lshlrev_b32_e32 v6, v6, v17
	v_lshl_or_b32 v16, v12, 12, v8
	v_cndmask_b32_e64 v8, 0, 1, vcc
	v_lshlrev_b32_e32 v11, v11, v18
	v_cmp_ne_u32_e32 vcc, v6, v13
	v_cndmask_b32_e64 v6, 0, 1, vcc
	v_cmp_ne_u32_e32 vcc, v11, v15
	v_cndmask_b32_e64 v11, 0, 1, vcc
	v_or_b32_e32 v6, v17, v6
	v_cmp_gt_i32_e32 vcc, 1, v10
	v_cndmask_b32_e32 v6, v14, v6, vcc
	v_or_b32_e32 v11, v18, v11
	v_cmp_gt_i32_e32 vcc, 1, v12
	v_and_b32_e32 v13, 7, v6
	v_cndmask_b32_e32 v11, v16, v11, vcc
	v_cmp_lt_i32_e32 vcc, 5, v13
	v_cmp_eq_u32_e64 s[0:1], 3, v13
	v_lshrrev_b32_e32 v6, 2, v6
	v_and_b32_e32 v14, 7, v11
	s_or_b64 vcc, s[0:1], vcc
	v_cmp_lt_i32_e64 s[2:3], 5, v14
	v_cmp_eq_u32_e64 s[4:5], 3, v14
	v_addc_co_u32_e32 v6, vcc, 0, v6, vcc
	v_lshrrev_b32_e32 v11, 2, v11
	s_or_b64 vcc, s[4:5], s[2:3]
	v_addc_co_u32_e32 v11, vcc, 0, v11, vcc
	v_cmp_gt_i32_e32 vcc, 31, v10
	v_cndmask_b32_e32 v6, v0, v6, vcc
	v_cmp_gt_i32_e32 vcc, 31, v12
	v_lshl_or_b32 v2, v2, 9, v0
	v_cndmask_b32_e32 v11, v0, v11, vcc
	v_cmp_eq_u32_e32 vcc, s18, v10
	v_lshrrev_b32_e32 v7, 16, v7
	v_lshl_or_b32 v8, v8, 9, v0
	v_cndmask_b32_e32 v2, v6, v2, vcc
	v_cmp_eq_u32_e32 vcc, s18, v12
	v_lshrrev_b32_e32 v9, 16, v9
	v_cndmask_b32_e32 v6, v11, v8, vcc
	v_and_or_b32 v2, v7, s17, v2
	v_and_or_b32 v6, v9, s17, v6
	v_and_b32_e32 v2, 0xffff, v2
	v_lshl_or_b32 v2, v6, 16, v2
	global_store_dword v[4:5], v2, off
	global_load_dword v2, v41, s[6:7] offset:1120
	v_lshrrev_b32_e32 v6, 16, v3
	v_mov_b32_e32 v8, s9
	v_add_co_u32_e32 v4, vcc, s8, v4
	v_addc_co_u32_e32 v5, vcc, v5, v8, vcc
	s_waitcnt vmcnt(0)
	v_mul_f16_sdwa v7, v6, v2 dst_sel:DWORD dst_unused:UNUSED_PAD src0_sel:DWORD src1_sel:WORD_1
	v_fma_f16 v7, v3, v2, v7
	v_mul_f16_sdwa v3, v3, v2 dst_sel:DWORD dst_unused:UNUSED_PAD src0_sel:DWORD src1_sel:WORD_1
	v_cvt_f32_f16_e32 v7, v7
	v_fma_f16 v2, v2, v6, -v3
	v_cvt_f32_f16_e32 v6, v2
	v_cvt_f64_f32_e32 v[2:3], v7
	v_cvt_f64_f32_e32 v[6:7], v6
	v_mul_f64 v[2:3], v[2:3], s[14:15]
	v_mul_f64 v[6:7], v[6:7], s[14:15]
	v_and_or_b32 v2, v3, s16, v2
	v_cmp_ne_u32_e32 vcc, 0, v2
	v_and_or_b32 v6, v7, s16, v6
	v_lshrrev_b32_e32 v8, 8, v3
	v_bfe_u32 v9, v3, 20, 11
	v_cndmask_b32_e64 v2, 0, 1, vcc
	v_cmp_ne_u32_e32 vcc, 0, v6
	v_lshrrev_b32_e32 v10, 8, v7
	v_bfe_u32 v11, v7, 20, 11
	v_sub_u32_e32 v12, 0x3f1, v9
	v_cndmask_b32_e64 v6, 0, 1, vcc
	v_and_or_b32 v2, v8, s10, v2
	v_sub_u32_e32 v13, 0x3f1, v11
	v_med3_i32 v8, v12, 0, 13
	v_and_or_b32 v6, v10, s10, v6
	v_or_b32_e32 v12, 0x1000, v2
	v_add_u32_e32 v9, 0xfffffc10, v9
	v_med3_i32 v10, v13, 0, 13
	v_cmp_ne_u32_e32 vcc, 0, v2
	v_or_b32_e32 v14, 0x1000, v6
	v_lshrrev_b32_e32 v16, v8, v12
	v_add_u32_e32 v11, 0xfffffc10, v11
	v_lshl_or_b32 v13, v9, 12, v2
	v_cndmask_b32_e64 v2, 0, 1, vcc
	v_cmp_ne_u32_e32 vcc, 0, v6
	v_lshrrev_b32_e32 v17, v10, v14
	v_lshlrev_b32_e32 v8, v8, v16
	v_lshl_or_b32 v15, v11, 12, v6
	v_cndmask_b32_e64 v6, 0, 1, vcc
	v_lshlrev_b32_e32 v10, v10, v17
	v_cmp_ne_u32_e32 vcc, v8, v12
	v_cndmask_b32_e64 v8, 0, 1, vcc
	v_cmp_ne_u32_e32 vcc, v10, v14
	v_cndmask_b32_e64 v10, 0, 1, vcc
	v_or_b32_e32 v8, v16, v8
	v_cmp_gt_i32_e32 vcc, 1, v9
	v_cndmask_b32_e32 v8, v13, v8, vcc
	v_or_b32_e32 v10, v17, v10
	v_cmp_gt_i32_e32 vcc, 1, v11
	v_and_b32_e32 v12, 7, v8
	v_cndmask_b32_e32 v10, v15, v10, vcc
	v_cmp_lt_i32_e32 vcc, 5, v12
	v_cmp_eq_u32_e64 s[0:1], 3, v12
	v_lshrrev_b32_e32 v8, 2, v8
	v_and_b32_e32 v13, 7, v10
	s_or_b64 vcc, s[0:1], vcc
	v_cmp_lt_i32_e64 s[2:3], 5, v13
	v_cmp_eq_u32_e64 s[4:5], 3, v13
	v_addc_co_u32_e32 v8, vcc, 0, v8, vcc
	v_lshrrev_b32_e32 v10, 2, v10
	s_or_b64 vcc, s[4:5], s[2:3]
	v_addc_co_u32_e32 v10, vcc, 0, v10, vcc
	v_cmp_gt_i32_e32 vcc, 31, v9
	v_cndmask_b32_e32 v8, v0, v8, vcc
	v_cmp_gt_i32_e32 vcc, 31, v11
	v_lshl_or_b32 v2, v2, 9, v0
	v_cndmask_b32_e32 v10, v0, v10, vcc
	v_cmp_eq_u32_e32 vcc, s18, v9
	v_lshrrev_b32_e32 v3, 16, v3
	v_lshl_or_b32 v6, v6, 9, v0
	v_cndmask_b32_e32 v2, v8, v2, vcc
	v_cmp_eq_u32_e32 vcc, s18, v11
	v_lshrrev_b32_e32 v7, 16, v7
	v_cndmask_b32_e32 v6, v10, v6, vcc
	v_and_or_b32 v2, v3, s17, v2
	v_and_or_b32 v3, v7, s17, v6
	v_and_b32_e32 v2, 0xffff, v2
	v_lshl_or_b32 v2, v3, 16, v2
	global_store_dword v[4:5], v2, off
	global_load_dword v3, v41, s[6:7] offset:1400
	ds_read2_b32 v[1:2], v1 offset0:94 offset1:164
	s_waitcnt lgkmcnt(0)
	v_lshrrev_b32_e32 v6, 16, v1
	s_waitcnt vmcnt(0)
	v_mul_f16_sdwa v7, v6, v3 dst_sel:DWORD dst_unused:UNUSED_PAD src0_sel:DWORD src1_sel:WORD_1
	v_fma_f16 v7, v1, v3, v7
	v_mul_f16_sdwa v1, v1, v3 dst_sel:DWORD dst_unused:UNUSED_PAD src0_sel:DWORD src1_sel:WORD_1
	v_cvt_f32_f16_e32 v7, v7
	v_fma_f16 v1, v3, v6, -v1
	v_cvt_f32_f16_e32 v1, v1
	v_add_co_u32_e32 v3, vcc, s8, v4
	v_cvt_f64_f32_e32 v[6:7], v7
	v_cvt_f64_f32_e32 v[8:9], v1
	v_mov_b32_e32 v1, s9
	v_addc_co_u32_e32 v4, vcc, v5, v1, vcc
	v_mul_f64 v[6:7], v[6:7], s[14:15]
	v_mul_f64 v[8:9], v[8:9], s[14:15]
	v_and_or_b32 v1, v7, s16, v6
	v_and_or_b32 v8, v9, s16, v8
	v_cmp_ne_u32_e32 vcc, 0, v1
	v_lshrrev_b32_e32 v5, 8, v7
	v_bfe_u32 v6, v7, 20, 11
	v_cndmask_b32_e64 v1, 0, 1, vcc
	v_cmp_ne_u32_e32 vcc, 0, v8
	v_lshrrev_b32_e32 v10, 8, v9
	v_bfe_u32 v11, v9, 20, 11
	v_sub_u32_e32 v12, 0x3f1, v6
	v_cndmask_b32_e64 v8, 0, 1, vcc
	v_and_or_b32 v1, v5, s10, v1
	v_sub_u32_e32 v13, 0x3f1, v11
	v_med3_i32 v5, v12, 0, 13
	v_and_or_b32 v8, v10, s10, v8
	v_or_b32_e32 v12, 0x1000, v1
	v_add_u32_e32 v6, 0xfffffc10, v6
	v_med3_i32 v10, v13, 0, 13
	v_cmp_ne_u32_e32 vcc, 0, v1
	v_or_b32_e32 v14, 0x1000, v8
	v_lshrrev_b32_e32 v16, v5, v12
	v_add_u32_e32 v11, 0xfffffc10, v11
	v_lshl_or_b32 v13, v6, 12, v1
	v_cndmask_b32_e64 v1, 0, 1, vcc
	v_cmp_ne_u32_e32 vcc, 0, v8
	v_lshrrev_b32_e32 v17, v10, v14
	v_lshlrev_b32_e32 v5, v5, v16
	v_lshl_or_b32 v15, v11, 12, v8
	v_cndmask_b32_e64 v8, 0, 1, vcc
	v_lshlrev_b32_e32 v10, v10, v17
	v_cmp_ne_u32_e32 vcc, v5, v12
	v_cndmask_b32_e64 v5, 0, 1, vcc
	v_cmp_ne_u32_e32 vcc, v10, v14
	v_cndmask_b32_e64 v10, 0, 1, vcc
	v_or_b32_e32 v5, v16, v5
	v_cmp_gt_i32_e32 vcc, 1, v6
	v_cndmask_b32_e32 v5, v13, v5, vcc
	v_or_b32_e32 v10, v17, v10
	v_cmp_gt_i32_e32 vcc, 1, v11
	v_and_b32_e32 v12, 7, v5
	v_cndmask_b32_e32 v10, v15, v10, vcc
	v_cmp_lt_i32_e32 vcc, 5, v12
	v_cmp_eq_u32_e64 s[0:1], 3, v12
	v_lshrrev_b32_e32 v5, 2, v5
	v_and_b32_e32 v13, 7, v10
	s_or_b64 vcc, s[0:1], vcc
	v_cmp_lt_i32_e64 s[2:3], 5, v13
	v_cmp_eq_u32_e64 s[4:5], 3, v13
	v_addc_co_u32_e32 v5, vcc, 0, v5, vcc
	v_lshrrev_b32_e32 v10, 2, v10
	s_or_b64 vcc, s[4:5], s[2:3]
	v_addc_co_u32_e32 v10, vcc, 0, v10, vcc
	v_cmp_gt_i32_e32 vcc, 31, v6
	v_cndmask_b32_e32 v5, v0, v5, vcc
	v_cmp_gt_i32_e32 vcc, 31, v11
	v_lshl_or_b32 v1, v1, 9, v0
	v_cndmask_b32_e32 v10, v0, v10, vcc
	v_cmp_eq_u32_e32 vcc, s18, v6
	v_lshrrev_b32_e32 v7, 16, v7
	v_lshl_or_b32 v8, v8, 9, v0
	v_cndmask_b32_e32 v1, v5, v1, vcc
	v_cmp_eq_u32_e32 vcc, s18, v11
	v_lshrrev_b32_e32 v9, 16, v9
	v_cndmask_b32_e32 v5, v10, v8, vcc
	v_and_or_b32 v1, v7, s17, v1
	v_and_or_b32 v5, v9, s17, v5
	v_and_b32_e32 v1, 0xffff, v1
	v_lshl_or_b32 v1, v5, 16, v1
	global_store_dword v[3:4], v1, off
	global_load_dword v1, v41, s[6:7] offset:1680
	v_lshrrev_b32_e32 v5, 16, v2
	v_mov_b32_e32 v7, s9
	v_add_co_u32_e32 v3, vcc, s8, v3
	v_addc_co_u32_e32 v4, vcc, v4, v7, vcc
	s_waitcnt vmcnt(0)
	v_mul_f16_sdwa v6, v5, v1 dst_sel:DWORD dst_unused:UNUSED_PAD src0_sel:DWORD src1_sel:WORD_1
	v_fma_f16 v6, v2, v1, v6
	v_mul_f16_sdwa v2, v2, v1 dst_sel:DWORD dst_unused:UNUSED_PAD src0_sel:DWORD src1_sel:WORD_1
	v_cvt_f32_f16_e32 v6, v6
	v_fma_f16 v1, v1, v5, -v2
	v_cvt_f32_f16_e32 v5, v1
	v_cvt_f64_f32_e32 v[1:2], v6
	v_cvt_f64_f32_e32 v[5:6], v5
	v_mul_f64 v[1:2], v[1:2], s[14:15]
	v_mul_f64 v[5:6], v[5:6], s[14:15]
	v_and_or_b32 v1, v2, s16, v1
	v_cmp_ne_u32_e32 vcc, 0, v1
	v_and_or_b32 v5, v6, s16, v5
	v_lshrrev_b32_e32 v7, 8, v2
	v_bfe_u32 v8, v2, 20, 11
	v_cndmask_b32_e64 v1, 0, 1, vcc
	v_cmp_ne_u32_e32 vcc, 0, v5
	v_lshrrev_b32_e32 v9, 8, v6
	v_bfe_u32 v10, v6, 20, 11
	v_sub_u32_e32 v11, 0x3f1, v8
	v_cndmask_b32_e64 v5, 0, 1, vcc
	v_and_or_b32 v1, v7, s10, v1
	v_sub_u32_e32 v12, 0x3f1, v10
	v_med3_i32 v7, v11, 0, 13
	v_and_or_b32 v5, v9, s10, v5
	v_or_b32_e32 v11, 0x1000, v1
	v_add_u32_e32 v8, 0xfffffc10, v8
	v_med3_i32 v9, v12, 0, 13
	v_cmp_ne_u32_e32 vcc, 0, v1
	v_or_b32_e32 v13, 0x1000, v5
	v_lshrrev_b32_e32 v15, v7, v11
	v_add_u32_e32 v10, 0xfffffc10, v10
	v_lshl_or_b32 v12, v8, 12, v1
	v_cndmask_b32_e64 v1, 0, 1, vcc
	v_cmp_ne_u32_e32 vcc, 0, v5
	v_lshrrev_b32_e32 v16, v9, v13
	v_lshlrev_b32_e32 v7, v7, v15
	v_lshl_or_b32 v14, v10, 12, v5
	v_cndmask_b32_e64 v5, 0, 1, vcc
	v_lshlrev_b32_e32 v9, v9, v16
	v_cmp_ne_u32_e32 vcc, v7, v11
	v_cndmask_b32_e64 v7, 0, 1, vcc
	v_cmp_ne_u32_e32 vcc, v9, v13
	v_cndmask_b32_e64 v9, 0, 1, vcc
	v_or_b32_e32 v7, v15, v7
	v_cmp_gt_i32_e32 vcc, 1, v8
	v_cndmask_b32_e32 v7, v12, v7, vcc
	v_or_b32_e32 v9, v16, v9
	v_cmp_gt_i32_e32 vcc, 1, v10
	v_and_b32_e32 v11, 7, v7
	v_cndmask_b32_e32 v9, v14, v9, vcc
	v_cmp_lt_i32_e32 vcc, 5, v11
	v_cmp_eq_u32_e64 s[0:1], 3, v11
	v_lshrrev_b32_e32 v7, 2, v7
	v_and_b32_e32 v12, 7, v9
	s_or_b64 vcc, s[0:1], vcc
	v_cmp_lt_i32_e64 s[2:3], 5, v12
	v_cmp_eq_u32_e64 s[4:5], 3, v12
	v_addc_co_u32_e32 v7, vcc, 0, v7, vcc
	v_lshrrev_b32_e32 v9, 2, v9
	s_or_b64 vcc, s[4:5], s[2:3]
	v_addc_co_u32_e32 v9, vcc, 0, v9, vcc
	v_cmp_gt_i32_e32 vcc, 31, v8
	v_cndmask_b32_e32 v7, v0, v7, vcc
	v_cmp_gt_i32_e32 vcc, 31, v10
	v_lshl_or_b32 v1, v1, 9, v0
	v_cndmask_b32_e32 v9, v0, v9, vcc
	v_cmp_eq_u32_e32 vcc, s18, v8
	v_lshrrev_b32_e32 v2, 16, v2
	v_lshl_or_b32 v5, v5, 9, v0
	v_cndmask_b32_e32 v1, v7, v1, vcc
	v_cmp_eq_u32_e32 vcc, s18, v10
	v_lshrrev_b32_e32 v6, 16, v6
	v_cndmask_b32_e32 v5, v9, v5, vcc
	v_and_or_b32 v1, v2, s17, v1
	v_and_or_b32 v2, v6, s17, v5
	v_and_b32_e32 v1, 0xffff, v1
	v_lshl_or_b32 v1, v2, 16, v1
	global_store_dword v[3:4], v1, off
	global_load_dword v5, v41, s[6:7] offset:1960
	v_add_u32_e32 v1, 0x600, v43
	ds_read2_b32 v[1:2], v1 offset0:106 offset1:176
	v_add_co_u32_e32 v3, vcc, s8, v3
	s_waitcnt lgkmcnt(0)
	v_lshrrev_b32_e32 v6, 16, v1
	s_waitcnt vmcnt(0)
	v_mul_f16_sdwa v7, v6, v5 dst_sel:DWORD dst_unused:UNUSED_PAD src0_sel:DWORD src1_sel:WORD_1
	v_fma_f16 v7, v1, v5, v7
	v_mul_f16_sdwa v1, v1, v5 dst_sel:DWORD dst_unused:UNUSED_PAD src0_sel:DWORD src1_sel:WORD_1
	v_cvt_f32_f16_e32 v7, v7
	v_fma_f16 v1, v5, v6, -v1
	v_cvt_f32_f16_e32 v1, v1
	v_cvt_f64_f32_e32 v[5:6], v7
	v_cvt_f64_f32_e32 v[7:8], v1
	v_mov_b32_e32 v1, s9
	v_mul_f64 v[5:6], v[5:6], s[14:15]
	v_addc_co_u32_e32 v4, vcc, v4, v1, vcc
	v_mul_f64 v[7:8], v[7:8], s[14:15]
	v_and_or_b32 v1, v6, s16, v5
	v_cmp_ne_u32_e32 vcc, 0, v1
	v_lshrrev_b32_e32 v5, 8, v6
	v_and_or_b32 v7, v8, s16, v7
	v_bfe_u32 v9, v6, 20, 11
	v_cndmask_b32_e64 v1, 0, 1, vcc
	v_cmp_ne_u32_e32 vcc, 0, v7
	v_lshrrev_b32_e32 v10, 8, v8
	v_bfe_u32 v11, v8, 20, 11
	v_sub_u32_e32 v12, 0x3f1, v9
	v_cndmask_b32_e64 v7, 0, 1, vcc
	v_and_or_b32 v1, v5, s10, v1
	v_sub_u32_e32 v13, 0x3f1, v11
	v_med3_i32 v5, v12, 0, 13
	v_and_or_b32 v7, v10, s10, v7
	v_or_b32_e32 v12, 0x1000, v1
	v_add_u32_e32 v9, 0xfffffc10, v9
	v_med3_i32 v10, v13, 0, 13
	v_cmp_ne_u32_e32 vcc, 0, v1
	v_or_b32_e32 v14, 0x1000, v7
	v_lshrrev_b32_e32 v16, v5, v12
	v_add_u32_e32 v11, 0xfffffc10, v11
	v_lshl_or_b32 v13, v9, 12, v1
	v_cndmask_b32_e64 v1, 0, 1, vcc
	v_cmp_ne_u32_e32 vcc, 0, v7
	v_lshrrev_b32_e32 v17, v10, v14
	v_lshlrev_b32_e32 v5, v5, v16
	v_lshl_or_b32 v15, v11, 12, v7
	v_cndmask_b32_e64 v7, 0, 1, vcc
	v_lshlrev_b32_e32 v10, v10, v17
	v_cmp_ne_u32_e32 vcc, v5, v12
	v_cndmask_b32_e64 v5, 0, 1, vcc
	v_cmp_ne_u32_e32 vcc, v10, v14
	v_cndmask_b32_e64 v10, 0, 1, vcc
	v_or_b32_e32 v5, v16, v5
	v_cmp_gt_i32_e32 vcc, 1, v9
	v_cndmask_b32_e32 v5, v13, v5, vcc
	v_or_b32_e32 v10, v17, v10
	v_cmp_gt_i32_e32 vcc, 1, v11
	v_and_b32_e32 v12, 7, v5
	v_cndmask_b32_e32 v10, v15, v10, vcc
	v_cmp_lt_i32_e32 vcc, 5, v12
	v_cmp_eq_u32_e64 s[0:1], 3, v12
	v_lshrrev_b32_e32 v5, 2, v5
	v_and_b32_e32 v13, 7, v10
	s_or_b64 vcc, s[0:1], vcc
	v_cmp_lt_i32_e64 s[2:3], 5, v13
	v_cmp_eq_u32_e64 s[4:5], 3, v13
	v_addc_co_u32_e32 v5, vcc, 0, v5, vcc
	v_lshrrev_b32_e32 v10, 2, v10
	s_or_b64 vcc, s[4:5], s[2:3]
	v_addc_co_u32_e32 v10, vcc, 0, v10, vcc
	v_cmp_gt_i32_e32 vcc, 31, v9
	v_cndmask_b32_e32 v5, v0, v5, vcc
	v_cmp_gt_i32_e32 vcc, 31, v11
	v_lshl_or_b32 v1, v1, 9, v0
	v_cndmask_b32_e32 v10, v0, v10, vcc
	v_cmp_eq_u32_e32 vcc, s18, v9
	v_lshrrev_b32_e32 v6, 16, v6
	v_lshl_or_b32 v7, v7, 9, v0
	v_cndmask_b32_e32 v1, v5, v1, vcc
	v_cmp_eq_u32_e32 vcc, s18, v11
	v_lshrrev_b32_e32 v8, 16, v8
	v_cndmask_b32_e32 v5, v10, v7, vcc
	v_and_or_b32 v1, v6, s17, v1
	v_and_or_b32 v5, v8, s17, v5
	v_and_b32_e32 v1, 0xffff, v1
	v_lshl_or_b32 v1, v5, 16, v1
	global_store_dword v[3:4], v1, off
	global_load_dword v1, v41, s[6:7] offset:2240
	v_lshrrev_b32_e32 v5, 16, v2
	v_mov_b32_e32 v7, s9
	v_add_co_u32_e32 v3, vcc, s8, v3
	v_addc_co_u32_e32 v4, vcc, v4, v7, vcc
	s_waitcnt vmcnt(0)
	v_mul_f16_sdwa v6, v5, v1 dst_sel:DWORD dst_unused:UNUSED_PAD src0_sel:DWORD src1_sel:WORD_1
	v_fma_f16 v6, v2, v1, v6
	v_mul_f16_sdwa v2, v2, v1 dst_sel:DWORD dst_unused:UNUSED_PAD src0_sel:DWORD src1_sel:WORD_1
	v_cvt_f32_f16_e32 v6, v6
	v_fma_f16 v1, v1, v5, -v2
	v_cvt_f32_f16_e32 v5, v1
	v_cvt_f64_f32_e32 v[1:2], v6
	v_cvt_f64_f32_e32 v[5:6], v5
	v_mul_f64 v[1:2], v[1:2], s[14:15]
	v_mul_f64 v[5:6], v[5:6], s[14:15]
	v_and_or_b32 v1, v2, s16, v1
	v_cmp_ne_u32_e32 vcc, 0, v1
	v_and_or_b32 v5, v6, s16, v5
	v_lshrrev_b32_e32 v7, 8, v2
	v_bfe_u32 v8, v2, 20, 11
	v_cndmask_b32_e64 v1, 0, 1, vcc
	v_cmp_ne_u32_e32 vcc, 0, v5
	v_lshrrev_b32_e32 v9, 8, v6
	v_bfe_u32 v10, v6, 20, 11
	v_sub_u32_e32 v11, 0x3f1, v8
	v_cndmask_b32_e64 v5, 0, 1, vcc
	v_and_or_b32 v1, v7, s10, v1
	v_sub_u32_e32 v12, 0x3f1, v10
	v_med3_i32 v7, v11, 0, 13
	v_and_or_b32 v5, v9, s10, v5
	v_or_b32_e32 v11, 0x1000, v1
	v_add_u32_e32 v8, 0xfffffc10, v8
	v_med3_i32 v9, v12, 0, 13
	v_cmp_ne_u32_e32 vcc, 0, v1
	v_or_b32_e32 v13, 0x1000, v5
	v_lshrrev_b32_e32 v15, v7, v11
	v_add_u32_e32 v10, 0xfffffc10, v10
	v_lshl_or_b32 v12, v8, 12, v1
	v_cndmask_b32_e64 v1, 0, 1, vcc
	v_cmp_ne_u32_e32 vcc, 0, v5
	v_lshrrev_b32_e32 v16, v9, v13
	v_lshlrev_b32_e32 v7, v7, v15
	v_lshl_or_b32 v14, v10, 12, v5
	v_cndmask_b32_e64 v5, 0, 1, vcc
	v_lshlrev_b32_e32 v9, v9, v16
	v_cmp_ne_u32_e32 vcc, v7, v11
	v_cndmask_b32_e64 v7, 0, 1, vcc
	v_cmp_ne_u32_e32 vcc, v9, v13
	v_cndmask_b32_e64 v9, 0, 1, vcc
	v_or_b32_e32 v7, v15, v7
	v_cmp_gt_i32_e32 vcc, 1, v8
	v_cndmask_b32_e32 v7, v12, v7, vcc
	v_or_b32_e32 v9, v16, v9
	v_cmp_gt_i32_e32 vcc, 1, v10
	v_and_b32_e32 v11, 7, v7
	v_cndmask_b32_e32 v9, v14, v9, vcc
	v_cmp_lt_i32_e32 vcc, 5, v11
	v_cmp_eq_u32_e64 s[0:1], 3, v11
	v_lshrrev_b32_e32 v7, 2, v7
	v_and_b32_e32 v12, 7, v9
	s_or_b64 vcc, s[0:1], vcc
	v_cmp_lt_i32_e64 s[2:3], 5, v12
	v_cmp_eq_u32_e64 s[4:5], 3, v12
	v_addc_co_u32_e32 v7, vcc, 0, v7, vcc
	v_lshrrev_b32_e32 v9, 2, v9
	s_or_b64 vcc, s[4:5], s[2:3]
	v_addc_co_u32_e32 v9, vcc, 0, v9, vcc
	v_cmp_gt_i32_e32 vcc, 31, v8
	v_cndmask_b32_e32 v7, v0, v7, vcc
	v_cmp_gt_i32_e32 vcc, 31, v10
	v_lshl_or_b32 v1, v1, 9, v0
	v_cndmask_b32_e32 v9, v0, v9, vcc
	v_cmp_eq_u32_e32 vcc, s18, v8
	v_lshrrev_b32_e32 v2, 16, v2
	v_lshl_or_b32 v5, v5, 9, v0
	v_cndmask_b32_e32 v1, v7, v1, vcc
	v_cmp_eq_u32_e32 vcc, s18, v10
	v_lshrrev_b32_e32 v6, 16, v6
	v_cndmask_b32_e32 v5, v9, v5, vcc
	v_and_or_b32 v1, v2, s17, v1
	v_and_or_b32 v2, v6, s17, v5
	v_and_b32_e32 v1, 0xffff, v1
	v_lshl_or_b32 v1, v2, 16, v1
	global_store_dword v[3:4], v1, off
	global_load_dword v5, v41, s[6:7] offset:2520
	v_add_u32_e32 v1, 0x800, v43
	ds_read2_b32 v[1:2], v1 offset0:118 offset1:188
	v_add_co_u32_e32 v3, vcc, s8, v3
	s_waitcnt lgkmcnt(0)
	v_lshrrev_b32_e32 v6, 16, v1
	s_waitcnt vmcnt(0)
	v_mul_f16_sdwa v7, v6, v5 dst_sel:DWORD dst_unused:UNUSED_PAD src0_sel:DWORD src1_sel:WORD_1
	v_fma_f16 v7, v1, v5, v7
	v_mul_f16_sdwa v1, v1, v5 dst_sel:DWORD dst_unused:UNUSED_PAD src0_sel:DWORD src1_sel:WORD_1
	v_cvt_f32_f16_e32 v7, v7
	v_fma_f16 v1, v5, v6, -v1
	v_cvt_f32_f16_e32 v1, v1
	v_cvt_f64_f32_e32 v[5:6], v7
	v_cvt_f64_f32_e32 v[7:8], v1
	v_mov_b32_e32 v1, s9
	v_mul_f64 v[5:6], v[5:6], s[14:15]
	v_addc_co_u32_e32 v4, vcc, v4, v1, vcc
	v_mul_f64 v[7:8], v[7:8], s[14:15]
	v_and_or_b32 v1, v6, s16, v5
	v_cmp_ne_u32_e32 vcc, 0, v1
	v_lshrrev_b32_e32 v5, 8, v6
	v_and_or_b32 v7, v8, s16, v7
	v_bfe_u32 v9, v6, 20, 11
	v_cndmask_b32_e64 v1, 0, 1, vcc
	v_cmp_ne_u32_e32 vcc, 0, v7
	v_lshrrev_b32_e32 v10, 8, v8
	v_bfe_u32 v11, v8, 20, 11
	v_sub_u32_e32 v12, 0x3f1, v9
	v_cndmask_b32_e64 v7, 0, 1, vcc
	v_and_or_b32 v1, v5, s10, v1
	v_sub_u32_e32 v13, 0x3f1, v11
	v_med3_i32 v5, v12, 0, 13
	v_and_or_b32 v7, v10, s10, v7
	v_or_b32_e32 v12, 0x1000, v1
	v_add_u32_e32 v9, 0xfffffc10, v9
	v_med3_i32 v10, v13, 0, 13
	v_cmp_ne_u32_e32 vcc, 0, v1
	v_or_b32_e32 v14, 0x1000, v7
	v_lshrrev_b32_e32 v16, v5, v12
	v_add_u32_e32 v11, 0xfffffc10, v11
	v_lshl_or_b32 v13, v9, 12, v1
	v_cndmask_b32_e64 v1, 0, 1, vcc
	v_cmp_ne_u32_e32 vcc, 0, v7
	v_lshrrev_b32_e32 v17, v10, v14
	v_lshlrev_b32_e32 v5, v5, v16
	v_lshl_or_b32 v15, v11, 12, v7
	v_cndmask_b32_e64 v7, 0, 1, vcc
	v_lshlrev_b32_e32 v10, v10, v17
	v_cmp_ne_u32_e32 vcc, v5, v12
	v_cndmask_b32_e64 v5, 0, 1, vcc
	v_cmp_ne_u32_e32 vcc, v10, v14
	v_cndmask_b32_e64 v10, 0, 1, vcc
	v_or_b32_e32 v5, v16, v5
	v_cmp_gt_i32_e32 vcc, 1, v9
	v_cndmask_b32_e32 v5, v13, v5, vcc
	v_or_b32_e32 v10, v17, v10
	v_cmp_gt_i32_e32 vcc, 1, v11
	v_and_b32_e32 v12, 7, v5
	v_cndmask_b32_e32 v10, v15, v10, vcc
	v_cmp_lt_i32_e32 vcc, 5, v12
	v_cmp_eq_u32_e64 s[0:1], 3, v12
	v_lshrrev_b32_e32 v5, 2, v5
	v_and_b32_e32 v13, 7, v10
	s_or_b64 vcc, s[0:1], vcc
	v_cmp_lt_i32_e64 s[2:3], 5, v13
	v_cmp_eq_u32_e64 s[4:5], 3, v13
	v_addc_co_u32_e32 v5, vcc, 0, v5, vcc
	v_lshrrev_b32_e32 v10, 2, v10
	s_or_b64 vcc, s[4:5], s[2:3]
	v_addc_co_u32_e32 v10, vcc, 0, v10, vcc
	v_cmp_gt_i32_e32 vcc, 31, v9
	v_cndmask_b32_e32 v5, v0, v5, vcc
	v_cmp_gt_i32_e32 vcc, 31, v11
	v_lshl_or_b32 v1, v1, 9, v0
	v_cndmask_b32_e32 v10, v0, v10, vcc
	v_cmp_eq_u32_e32 vcc, s18, v9
	v_lshrrev_b32_e32 v6, 16, v6
	v_lshl_or_b32 v7, v7, 9, v0
	v_cndmask_b32_e32 v1, v5, v1, vcc
	v_cmp_eq_u32_e32 vcc, s18, v11
	v_lshrrev_b32_e32 v8, 16, v8
	v_cndmask_b32_e32 v5, v10, v7, vcc
	v_and_or_b32 v1, v6, s17, v1
	v_and_or_b32 v5, v8, s17, v5
	v_and_b32_e32 v1, 0xffff, v1
	v_lshl_or_b32 v1, v5, 16, v1
	global_store_dword v[3:4], v1, off
	global_load_dword v1, v41, s[6:7] offset:2800
	v_lshrrev_b32_e32 v5, 16, v2
	v_mov_b32_e32 v7, s9
	v_add_co_u32_e32 v3, vcc, s8, v3
	v_addc_co_u32_e32 v4, vcc, v4, v7, vcc
	s_waitcnt vmcnt(0)
	v_mul_f16_sdwa v6, v5, v1 dst_sel:DWORD dst_unused:UNUSED_PAD src0_sel:DWORD src1_sel:WORD_1
	v_fma_f16 v6, v2, v1, v6
	v_mul_f16_sdwa v2, v2, v1 dst_sel:DWORD dst_unused:UNUSED_PAD src0_sel:DWORD src1_sel:WORD_1
	v_cvt_f32_f16_e32 v6, v6
	v_fma_f16 v1, v1, v5, -v2
	v_cvt_f32_f16_e32 v5, v1
	v_cvt_f64_f32_e32 v[1:2], v6
	v_cvt_f64_f32_e32 v[5:6], v5
	v_mul_f64 v[1:2], v[1:2], s[14:15]
	v_mul_f64 v[5:6], v[5:6], s[14:15]
	v_and_or_b32 v1, v2, s16, v1
	v_cmp_ne_u32_e32 vcc, 0, v1
	v_and_or_b32 v5, v6, s16, v5
	v_lshrrev_b32_e32 v7, 8, v2
	v_bfe_u32 v8, v2, 20, 11
	v_cndmask_b32_e64 v1, 0, 1, vcc
	v_cmp_ne_u32_e32 vcc, 0, v5
	v_lshrrev_b32_e32 v9, 8, v6
	v_bfe_u32 v10, v6, 20, 11
	v_sub_u32_e32 v11, 0x3f1, v8
	v_cndmask_b32_e64 v5, 0, 1, vcc
	v_and_or_b32 v1, v7, s10, v1
	v_sub_u32_e32 v12, 0x3f1, v10
	v_med3_i32 v7, v11, 0, 13
	v_and_or_b32 v5, v9, s10, v5
	v_or_b32_e32 v11, 0x1000, v1
	v_add_u32_e32 v8, 0xfffffc10, v8
	v_med3_i32 v9, v12, 0, 13
	v_cmp_ne_u32_e32 vcc, 0, v1
	v_or_b32_e32 v13, 0x1000, v5
	v_lshrrev_b32_e32 v15, v7, v11
	v_add_u32_e32 v10, 0xfffffc10, v10
	v_lshl_or_b32 v12, v8, 12, v1
	v_cndmask_b32_e64 v1, 0, 1, vcc
	v_cmp_ne_u32_e32 vcc, 0, v5
	v_lshrrev_b32_e32 v16, v9, v13
	v_lshlrev_b32_e32 v7, v7, v15
	v_lshl_or_b32 v14, v10, 12, v5
	v_cndmask_b32_e64 v5, 0, 1, vcc
	v_lshlrev_b32_e32 v9, v9, v16
	v_cmp_ne_u32_e32 vcc, v7, v11
	v_cndmask_b32_e64 v7, 0, 1, vcc
	v_cmp_ne_u32_e32 vcc, v9, v13
	v_cndmask_b32_e64 v9, 0, 1, vcc
	v_or_b32_e32 v7, v15, v7
	v_cmp_gt_i32_e32 vcc, 1, v8
	v_cndmask_b32_e32 v7, v12, v7, vcc
	v_or_b32_e32 v9, v16, v9
	v_cmp_gt_i32_e32 vcc, 1, v10
	v_and_b32_e32 v11, 7, v7
	v_cndmask_b32_e32 v9, v14, v9, vcc
	v_cmp_lt_i32_e32 vcc, 5, v11
	v_cmp_eq_u32_e64 s[0:1], 3, v11
	v_lshrrev_b32_e32 v7, 2, v7
	v_and_b32_e32 v12, 7, v9
	s_or_b64 vcc, s[0:1], vcc
	v_cmp_lt_i32_e64 s[2:3], 5, v12
	v_cmp_eq_u32_e64 s[4:5], 3, v12
	v_addc_co_u32_e32 v7, vcc, 0, v7, vcc
	v_lshrrev_b32_e32 v9, 2, v9
	s_or_b64 vcc, s[4:5], s[2:3]
	v_addc_co_u32_e32 v9, vcc, 0, v9, vcc
	v_cmp_gt_i32_e32 vcc, 31, v8
	v_cndmask_b32_e32 v7, v0, v7, vcc
	v_cmp_gt_i32_e32 vcc, 31, v10
	v_lshl_or_b32 v1, v1, 9, v0
	v_cndmask_b32_e32 v9, v0, v9, vcc
	v_cmp_eq_u32_e32 vcc, s18, v8
	v_lshrrev_b32_e32 v2, 16, v2
	v_lshl_or_b32 v5, v5, 9, v0
	v_cndmask_b32_e32 v1, v7, v1, vcc
	v_cmp_eq_u32_e32 vcc, s18, v10
	v_lshrrev_b32_e32 v6, 16, v6
	v_cndmask_b32_e32 v5, v9, v5, vcc
	v_and_or_b32 v1, v2, s17, v1
	v_and_or_b32 v2, v6, s17, v5
	v_and_b32_e32 v1, 0xffff, v1
	v_lshl_or_b32 v1, v2, 16, v1
	global_store_dword v[3:4], v1, off
	global_load_dword v5, v41, s[6:7] offset:3080
	v_add_u32_e32 v9, 0xc00, v43
	ds_read2_b32 v[1:2], v9 offset0:2 offset1:72
	v_add_co_u32_e32 v3, vcc, s8, v3
	s_waitcnt lgkmcnt(0)
	v_lshrrev_b32_e32 v6, 16, v1
	s_waitcnt vmcnt(0)
	v_mul_f16_sdwa v7, v6, v5 dst_sel:DWORD dst_unused:UNUSED_PAD src0_sel:DWORD src1_sel:WORD_1
	v_fma_f16 v7, v1, v5, v7
	v_mul_f16_sdwa v1, v1, v5 dst_sel:DWORD dst_unused:UNUSED_PAD src0_sel:DWORD src1_sel:WORD_1
	v_cvt_f32_f16_e32 v7, v7
	v_fma_f16 v1, v5, v6, -v1
	v_cvt_f32_f16_e32 v1, v1
	v_cvt_f64_f32_e32 v[5:6], v7
	v_cvt_f64_f32_e32 v[7:8], v1
	v_mov_b32_e32 v1, s9
	v_mul_f64 v[5:6], v[5:6], s[14:15]
	v_addc_co_u32_e32 v4, vcc, v4, v1, vcc
	v_mul_f64 v[7:8], v[7:8], s[14:15]
	v_and_or_b32 v1, v6, s16, v5
	v_cmp_ne_u32_e32 vcc, 0, v1
	v_lshrrev_b32_e32 v5, 8, v6
	v_and_or_b32 v7, v8, s16, v7
	v_bfe_u32 v10, v6, 20, 11
	v_cndmask_b32_e64 v1, 0, 1, vcc
	v_cmp_ne_u32_e32 vcc, 0, v7
	v_lshrrev_b32_e32 v11, 8, v8
	v_bfe_u32 v12, v8, 20, 11
	v_sub_u32_e32 v13, 0x3f1, v10
	v_cndmask_b32_e64 v7, 0, 1, vcc
	v_and_or_b32 v1, v5, s10, v1
	v_sub_u32_e32 v14, 0x3f1, v12
	v_med3_i32 v5, v13, 0, 13
	v_and_or_b32 v7, v11, s10, v7
	v_or_b32_e32 v13, 0x1000, v1
	v_add_u32_e32 v10, 0xfffffc10, v10
	v_med3_i32 v11, v14, 0, 13
	v_cmp_ne_u32_e32 vcc, 0, v1
	v_or_b32_e32 v15, 0x1000, v7
	v_lshrrev_b32_e32 v17, v5, v13
	v_add_u32_e32 v12, 0xfffffc10, v12
	v_lshl_or_b32 v14, v10, 12, v1
	v_cndmask_b32_e64 v1, 0, 1, vcc
	v_cmp_ne_u32_e32 vcc, 0, v7
	v_lshrrev_b32_e32 v18, v11, v15
	v_lshlrev_b32_e32 v5, v5, v17
	v_lshl_or_b32 v16, v12, 12, v7
	v_cndmask_b32_e64 v7, 0, 1, vcc
	v_lshlrev_b32_e32 v11, v11, v18
	v_cmp_ne_u32_e32 vcc, v5, v13
	v_cndmask_b32_e64 v5, 0, 1, vcc
	v_cmp_ne_u32_e32 vcc, v11, v15
	v_cndmask_b32_e64 v11, 0, 1, vcc
	v_or_b32_e32 v5, v17, v5
	v_cmp_gt_i32_e32 vcc, 1, v10
	v_cndmask_b32_e32 v5, v14, v5, vcc
	v_or_b32_e32 v11, v18, v11
	v_cmp_gt_i32_e32 vcc, 1, v12
	v_and_b32_e32 v13, 7, v5
	v_cndmask_b32_e32 v11, v16, v11, vcc
	v_cmp_lt_i32_e32 vcc, 5, v13
	v_cmp_eq_u32_e64 s[0:1], 3, v13
	v_lshrrev_b32_e32 v5, 2, v5
	v_and_b32_e32 v14, 7, v11
	s_or_b64 vcc, s[0:1], vcc
	v_cmp_lt_i32_e64 s[2:3], 5, v14
	v_cmp_eq_u32_e64 s[4:5], 3, v14
	v_addc_co_u32_e32 v5, vcc, 0, v5, vcc
	v_lshrrev_b32_e32 v11, 2, v11
	s_or_b64 vcc, s[4:5], s[2:3]
	v_addc_co_u32_e32 v11, vcc, 0, v11, vcc
	v_cmp_gt_i32_e32 vcc, 31, v10
	v_cndmask_b32_e32 v5, v0, v5, vcc
	v_cmp_gt_i32_e32 vcc, 31, v12
	v_lshl_or_b32 v1, v1, 9, v0
	v_cndmask_b32_e32 v11, v0, v11, vcc
	v_cmp_eq_u32_e32 vcc, s18, v10
	v_lshrrev_b32_e32 v6, 16, v6
	v_lshl_or_b32 v7, v7, 9, v0
	v_cndmask_b32_e32 v1, v5, v1, vcc
	v_cmp_eq_u32_e32 vcc, s18, v12
	v_lshrrev_b32_e32 v8, 16, v8
	v_cndmask_b32_e32 v5, v11, v7, vcc
	v_and_or_b32 v1, v6, s17, v1
	v_and_or_b32 v5, v8, s17, v5
	v_and_b32_e32 v1, 0xffff, v1
	v_lshl_or_b32 v1, v5, 16, v1
	global_store_dword v[3:4], v1, off
	global_load_dword v1, v41, s[6:7] offset:3360
	v_lshrrev_b32_e32 v5, 16, v2
	v_mov_b32_e32 v7, s9
	v_add_co_u32_e32 v3, vcc, s8, v3
	v_addc_co_u32_e32 v4, vcc, v4, v7, vcc
	s_waitcnt vmcnt(0)
	v_mul_f16_sdwa v6, v5, v1 dst_sel:DWORD dst_unused:UNUSED_PAD src0_sel:DWORD src1_sel:WORD_1
	v_fma_f16 v6, v2, v1, v6
	v_mul_f16_sdwa v2, v2, v1 dst_sel:DWORD dst_unused:UNUSED_PAD src0_sel:DWORD src1_sel:WORD_1
	v_cvt_f32_f16_e32 v6, v6
	v_fma_f16 v1, v1, v5, -v2
	v_cvt_f32_f16_e32 v5, v1
	v_cvt_f64_f32_e32 v[1:2], v6
	v_cvt_f64_f32_e32 v[5:6], v5
	v_mul_f64 v[1:2], v[1:2], s[14:15]
	v_mul_f64 v[5:6], v[5:6], s[14:15]
	v_and_or_b32 v1, v2, s16, v1
	v_cmp_ne_u32_e32 vcc, 0, v1
	v_and_or_b32 v5, v6, s16, v5
	v_lshrrev_b32_e32 v7, 8, v2
	v_bfe_u32 v8, v2, 20, 11
	v_cndmask_b32_e64 v1, 0, 1, vcc
	v_cmp_ne_u32_e32 vcc, 0, v5
	v_lshrrev_b32_e32 v10, 8, v6
	v_bfe_u32 v11, v6, 20, 11
	v_sub_u32_e32 v12, 0x3f1, v8
	v_cndmask_b32_e64 v5, 0, 1, vcc
	v_and_or_b32 v1, v7, s10, v1
	v_sub_u32_e32 v13, 0x3f1, v11
	v_med3_i32 v7, v12, 0, 13
	v_and_or_b32 v5, v10, s10, v5
	v_or_b32_e32 v12, 0x1000, v1
	v_add_u32_e32 v8, 0xfffffc10, v8
	v_med3_i32 v10, v13, 0, 13
	v_cmp_ne_u32_e32 vcc, 0, v1
	v_or_b32_e32 v14, 0x1000, v5
	v_lshrrev_b32_e32 v16, v7, v12
	v_add_u32_e32 v11, 0xfffffc10, v11
	v_lshl_or_b32 v13, v8, 12, v1
	v_cndmask_b32_e64 v1, 0, 1, vcc
	v_cmp_ne_u32_e32 vcc, 0, v5
	v_lshrrev_b32_e32 v17, v10, v14
	v_lshlrev_b32_e32 v7, v7, v16
	v_lshl_or_b32 v15, v11, 12, v5
	v_cndmask_b32_e64 v5, 0, 1, vcc
	v_lshlrev_b32_e32 v10, v10, v17
	v_cmp_ne_u32_e32 vcc, v7, v12
	v_cndmask_b32_e64 v7, 0, 1, vcc
	v_cmp_ne_u32_e32 vcc, v10, v14
	v_cndmask_b32_e64 v10, 0, 1, vcc
	v_or_b32_e32 v7, v16, v7
	v_cmp_gt_i32_e32 vcc, 1, v8
	v_cndmask_b32_e32 v7, v13, v7, vcc
	v_or_b32_e32 v10, v17, v10
	v_cmp_gt_i32_e32 vcc, 1, v11
	v_and_b32_e32 v12, 7, v7
	v_cndmask_b32_e32 v10, v15, v10, vcc
	v_cmp_lt_i32_e32 vcc, 5, v12
	v_cmp_eq_u32_e64 s[0:1], 3, v12
	v_lshrrev_b32_e32 v7, 2, v7
	v_and_b32_e32 v13, 7, v10
	s_or_b64 vcc, s[0:1], vcc
	v_cmp_lt_i32_e64 s[2:3], 5, v13
	v_cmp_eq_u32_e64 s[4:5], 3, v13
	v_addc_co_u32_e32 v7, vcc, 0, v7, vcc
	v_lshrrev_b32_e32 v10, 2, v10
	s_or_b64 vcc, s[4:5], s[2:3]
	v_addc_co_u32_e32 v10, vcc, 0, v10, vcc
	v_cmp_gt_i32_e32 vcc, 31, v8
	v_cndmask_b32_e32 v7, v0, v7, vcc
	v_cmp_gt_i32_e32 vcc, 31, v11
	v_lshl_or_b32 v1, v1, 9, v0
	v_cndmask_b32_e32 v10, v0, v10, vcc
	v_cmp_eq_u32_e32 vcc, s18, v8
	v_lshrrev_b32_e32 v2, 16, v2
	v_lshl_or_b32 v5, v5, 9, v0
	v_cndmask_b32_e32 v1, v7, v1, vcc
	v_cmp_eq_u32_e32 vcc, s18, v11
	v_lshrrev_b32_e32 v6, 16, v6
	v_cndmask_b32_e32 v5, v10, v5, vcc
	v_and_or_b32 v1, v2, s17, v1
	v_and_or_b32 v2, v6, s17, v5
	v_and_b32_e32 v1, 0xffff, v1
	v_lshl_or_b32 v1, v2, 16, v1
	global_store_dword v[3:4], v1, off
	global_load_dword v5, v41, s[6:7] offset:3640
	ds_read2_b32 v[1:2], v9 offset0:142 offset1:212
	v_add_co_u32_e32 v3, vcc, s8, v3
	s_waitcnt lgkmcnt(0)
	v_lshrrev_b32_e32 v6, 16, v1
	s_waitcnt vmcnt(0)
	v_mul_f16_sdwa v7, v6, v5 dst_sel:DWORD dst_unused:UNUSED_PAD src0_sel:DWORD src1_sel:WORD_1
	v_fma_f16 v7, v1, v5, v7
	v_mul_f16_sdwa v1, v1, v5 dst_sel:DWORD dst_unused:UNUSED_PAD src0_sel:DWORD src1_sel:WORD_1
	v_cvt_f32_f16_e32 v7, v7
	v_fma_f16 v1, v5, v6, -v1
	v_cvt_f32_f16_e32 v1, v1
	v_cvt_f64_f32_e32 v[5:6], v7
	v_cvt_f64_f32_e32 v[7:8], v1
	v_mov_b32_e32 v1, s9
	v_mul_f64 v[5:6], v[5:6], s[14:15]
	v_addc_co_u32_e32 v4, vcc, v4, v1, vcc
	v_mul_f64 v[7:8], v[7:8], s[14:15]
	v_and_or_b32 v1, v6, s16, v5
	v_cmp_ne_u32_e32 vcc, 0, v1
	v_lshrrev_b32_e32 v5, 8, v6
	v_and_or_b32 v7, v8, s16, v7
	v_bfe_u32 v9, v6, 20, 11
	v_cndmask_b32_e64 v1, 0, 1, vcc
	v_cmp_ne_u32_e32 vcc, 0, v7
	v_lshrrev_b32_e32 v10, 8, v8
	v_bfe_u32 v11, v8, 20, 11
	v_sub_u32_e32 v12, 0x3f1, v9
	v_cndmask_b32_e64 v7, 0, 1, vcc
	v_and_or_b32 v1, v5, s10, v1
	v_sub_u32_e32 v13, 0x3f1, v11
	v_med3_i32 v5, v12, 0, 13
	v_and_or_b32 v7, v10, s10, v7
	v_or_b32_e32 v12, 0x1000, v1
	v_add_u32_e32 v9, 0xfffffc10, v9
	v_med3_i32 v10, v13, 0, 13
	v_cmp_ne_u32_e32 vcc, 0, v1
	v_or_b32_e32 v14, 0x1000, v7
	v_lshrrev_b32_e32 v16, v5, v12
	v_add_u32_e32 v11, 0xfffffc10, v11
	v_lshl_or_b32 v13, v9, 12, v1
	v_cndmask_b32_e64 v1, 0, 1, vcc
	v_cmp_ne_u32_e32 vcc, 0, v7
	v_lshrrev_b32_e32 v17, v10, v14
	v_lshlrev_b32_e32 v5, v5, v16
	v_lshl_or_b32 v15, v11, 12, v7
	v_cndmask_b32_e64 v7, 0, 1, vcc
	v_lshlrev_b32_e32 v10, v10, v17
	v_cmp_ne_u32_e32 vcc, v5, v12
	v_cndmask_b32_e64 v5, 0, 1, vcc
	v_cmp_ne_u32_e32 vcc, v10, v14
	v_cndmask_b32_e64 v10, 0, 1, vcc
	v_or_b32_e32 v5, v16, v5
	v_cmp_gt_i32_e32 vcc, 1, v9
	v_cndmask_b32_e32 v5, v13, v5, vcc
	v_or_b32_e32 v10, v17, v10
	v_cmp_gt_i32_e32 vcc, 1, v11
	v_and_b32_e32 v12, 7, v5
	v_cndmask_b32_e32 v10, v15, v10, vcc
	v_cmp_lt_i32_e32 vcc, 5, v12
	v_cmp_eq_u32_e64 s[0:1], 3, v12
	v_lshrrev_b32_e32 v5, 2, v5
	v_and_b32_e32 v13, 7, v10
	s_or_b64 vcc, s[0:1], vcc
	v_cmp_lt_i32_e64 s[2:3], 5, v13
	v_cmp_eq_u32_e64 s[4:5], 3, v13
	v_addc_co_u32_e32 v5, vcc, 0, v5, vcc
	v_lshrrev_b32_e32 v10, 2, v10
	s_or_b64 vcc, s[4:5], s[2:3]
	v_addc_co_u32_e32 v10, vcc, 0, v10, vcc
	v_cmp_gt_i32_e32 vcc, 31, v9
	v_cndmask_b32_e32 v5, v0, v5, vcc
	v_cmp_gt_i32_e32 vcc, 31, v11
	v_lshl_or_b32 v1, v1, 9, v0
	v_cndmask_b32_e32 v10, v0, v10, vcc
	v_cmp_eq_u32_e32 vcc, s18, v9
	v_lshrrev_b32_e32 v6, 16, v6
	v_lshl_or_b32 v7, v7, 9, v0
	v_cndmask_b32_e32 v1, v5, v1, vcc
	v_cmp_eq_u32_e32 vcc, s18, v11
	v_lshrrev_b32_e32 v8, 16, v8
	v_cndmask_b32_e32 v5, v10, v7, vcc
	v_and_or_b32 v1, v6, s17, v1
	v_and_or_b32 v5, v8, s17, v5
	v_and_b32_e32 v1, 0xffff, v1
	v_lshl_or_b32 v1, v5, 16, v1
	global_store_dword v[3:4], v1, off
	global_load_dword v1, v41, s[6:7] offset:3920
	v_lshrrev_b32_e32 v6, 16, v2
	v_mov_b32_e32 v5, s7
	s_movk_i32 s0, 0x1000
	v_mov_b32_e32 v9, s9
	s_waitcnt vmcnt(0)
	v_mul_f16_sdwa v7, v6, v1 dst_sel:DWORD dst_unused:UNUSED_PAD src0_sel:DWORD src1_sel:WORD_1
	v_fma_f16 v7, v2, v1, v7
	v_mul_f16_sdwa v2, v2, v1 dst_sel:DWORD dst_unused:UNUSED_PAD src0_sel:DWORD src1_sel:WORD_1
	v_cvt_f32_f16_e32 v7, v7
	v_fma_f16 v1, v1, v6, -v2
	v_cvt_f32_f16_e32 v6, v1
	v_cvt_f64_f32_e32 v[1:2], v7
	v_add_co_u32_e32 v7, vcc, s6, v41
	v_addc_co_u32_e32 v8, vcc, 0, v5, vcc
	v_cvt_f64_f32_e32 v[5:6], v6
	v_mul_f64 v[1:2], v[1:2], s[14:15]
	v_add_co_u32_e32 v7, vcc, s0, v7
	v_mul_f64 v[5:6], v[5:6], s[14:15]
	v_addc_co_u32_e32 v8, vcc, 0, v8, vcc
	v_add_co_u32_e32 v3, vcc, s8, v3
	v_addc_co_u32_e32 v4, vcc, v4, v9, vcc
	v_and_or_b32 v1, v2, s16, v1
	v_and_or_b32 v5, v6, s16, v5
	v_cmp_ne_u32_e32 vcc, 0, v1
	v_lshrrev_b32_e32 v9, 8, v2
	v_bfe_u32 v10, v2, 20, 11
	v_cndmask_b32_e64 v1, 0, 1, vcc
	v_cmp_ne_u32_e32 vcc, 0, v5
	v_lshrrev_b32_e32 v11, 8, v6
	v_bfe_u32 v12, v6, 20, 11
	v_sub_u32_e32 v13, 0x3f1, v10
	v_cndmask_b32_e64 v5, 0, 1, vcc
	v_and_or_b32 v1, v9, s10, v1
	v_sub_u32_e32 v14, 0x3f1, v12
	v_med3_i32 v9, v13, 0, 13
	v_and_or_b32 v5, v11, s10, v5
	v_or_b32_e32 v13, 0x1000, v1
	v_add_u32_e32 v10, 0xfffffc10, v10
	v_med3_i32 v11, v14, 0, 13
	v_cmp_ne_u32_e32 vcc, 0, v1
	v_or_b32_e32 v15, 0x1000, v5
	v_lshrrev_b32_e32 v17, v9, v13
	v_add_u32_e32 v12, 0xfffffc10, v12
	v_lshl_or_b32 v14, v10, 12, v1
	v_cndmask_b32_e64 v1, 0, 1, vcc
	v_cmp_ne_u32_e32 vcc, 0, v5
	v_lshrrev_b32_e32 v18, v11, v15
	v_lshlrev_b32_e32 v9, v9, v17
	v_lshl_or_b32 v16, v12, 12, v5
	v_cndmask_b32_e64 v5, 0, 1, vcc
	v_lshlrev_b32_e32 v11, v11, v18
	v_cmp_ne_u32_e32 vcc, v9, v13
	v_cndmask_b32_e64 v9, 0, 1, vcc
	v_cmp_ne_u32_e32 vcc, v11, v15
	v_cndmask_b32_e64 v11, 0, 1, vcc
	v_or_b32_e32 v9, v17, v9
	v_cmp_gt_i32_e32 vcc, 1, v10
	v_cndmask_b32_e32 v9, v14, v9, vcc
	v_or_b32_e32 v11, v18, v11
	v_cmp_gt_i32_e32 vcc, 1, v12
	v_and_b32_e32 v13, 7, v9
	v_cndmask_b32_e32 v11, v16, v11, vcc
	v_cmp_lt_i32_e32 vcc, 5, v13
	v_cmp_eq_u32_e64 s[0:1], 3, v13
	v_lshrrev_b32_e32 v9, 2, v9
	v_and_b32_e32 v14, 7, v11
	s_or_b64 vcc, s[0:1], vcc
	v_cmp_lt_i32_e64 s[2:3], 5, v14
	v_cmp_eq_u32_e64 s[4:5], 3, v14
	v_addc_co_u32_e32 v9, vcc, 0, v9, vcc
	v_lshrrev_b32_e32 v11, 2, v11
	s_or_b64 vcc, s[4:5], s[2:3]
	v_addc_co_u32_e32 v11, vcc, 0, v11, vcc
	v_cmp_gt_i32_e32 vcc, 31, v10
	v_cndmask_b32_e32 v9, v0, v9, vcc
	v_cmp_gt_i32_e32 vcc, 31, v12
	v_lshl_or_b32 v1, v1, 9, v0
	v_cndmask_b32_e32 v11, v0, v11, vcc
	v_cmp_eq_u32_e32 vcc, s18, v10
	v_lshrrev_b32_e32 v2, 16, v2
	v_lshl_or_b32 v5, v5, 9, v0
	v_cndmask_b32_e32 v1, v9, v1, vcc
	v_cmp_eq_u32_e32 vcc, s18, v12
	v_lshrrev_b32_e32 v6, 16, v6
	v_cndmask_b32_e32 v5, v11, v5, vcc
	v_and_or_b32 v1, v2, s17, v1
	v_and_or_b32 v2, v6, s17, v5
	v_and_b32_e32 v1, 0xffff, v1
	v_lshl_or_b32 v1, v2, 16, v1
	global_store_dword v[3:4], v1, off
	global_load_dword v5, v[7:8], off offset:104
	v_add_u32_e32 v1, 0x1000, v43
	ds_read2_b32 v[1:2], v1 offset0:26 offset1:96
	v_add_co_u32_e32 v3, vcc, s8, v3
	s_waitcnt lgkmcnt(0)
	v_lshrrev_b32_e32 v6, 16, v1
	s_waitcnt vmcnt(0)
	v_mul_f16_sdwa v9, v6, v5 dst_sel:DWORD dst_unused:UNUSED_PAD src0_sel:DWORD src1_sel:WORD_1
	v_fma_f16 v9, v1, v5, v9
	v_mul_f16_sdwa v1, v1, v5 dst_sel:DWORD dst_unused:UNUSED_PAD src0_sel:DWORD src1_sel:WORD_1
	v_cvt_f32_f16_e32 v9, v9
	v_fma_f16 v1, v5, v6, -v1
	v_cvt_f32_f16_e32 v1, v1
	v_cvt_f64_f32_e32 v[5:6], v9
	v_cvt_f64_f32_e32 v[9:10], v1
	v_mov_b32_e32 v1, s9
	v_mul_f64 v[5:6], v[5:6], s[14:15]
	v_addc_co_u32_e32 v4, vcc, v4, v1, vcc
	v_mul_f64 v[9:10], v[9:10], s[14:15]
	v_and_or_b32 v1, v6, s16, v5
	v_cmp_ne_u32_e32 vcc, 0, v1
	v_lshrrev_b32_e32 v5, 8, v6
	v_and_or_b32 v9, v10, s16, v9
	v_bfe_u32 v11, v6, 20, 11
	v_cndmask_b32_e64 v1, 0, 1, vcc
	v_cmp_ne_u32_e32 vcc, 0, v9
	v_lshrrev_b32_e32 v12, 8, v10
	v_bfe_u32 v13, v10, 20, 11
	v_sub_u32_e32 v14, 0x3f1, v11
	v_cndmask_b32_e64 v9, 0, 1, vcc
	v_and_or_b32 v1, v5, s10, v1
	v_sub_u32_e32 v15, 0x3f1, v13
	v_med3_i32 v5, v14, 0, 13
	v_and_or_b32 v9, v12, s10, v9
	v_or_b32_e32 v14, 0x1000, v1
	v_add_u32_e32 v11, 0xfffffc10, v11
	v_med3_i32 v12, v15, 0, 13
	v_cmp_ne_u32_e32 vcc, 0, v1
	v_or_b32_e32 v16, 0x1000, v9
	v_lshrrev_b32_e32 v18, v5, v14
	v_add_u32_e32 v13, 0xfffffc10, v13
	v_lshl_or_b32 v15, v11, 12, v1
	v_cndmask_b32_e64 v1, 0, 1, vcc
	v_cmp_ne_u32_e32 vcc, 0, v9
	v_lshrrev_b32_e32 v19, v12, v16
	v_lshlrev_b32_e32 v5, v5, v18
	v_lshl_or_b32 v17, v13, 12, v9
	v_cndmask_b32_e64 v9, 0, 1, vcc
	v_lshlrev_b32_e32 v12, v12, v19
	v_cmp_ne_u32_e32 vcc, v5, v14
	v_cndmask_b32_e64 v5, 0, 1, vcc
	v_cmp_ne_u32_e32 vcc, v12, v16
	v_cndmask_b32_e64 v12, 0, 1, vcc
	v_or_b32_e32 v5, v18, v5
	v_cmp_gt_i32_e32 vcc, 1, v11
	v_cndmask_b32_e32 v5, v15, v5, vcc
	v_or_b32_e32 v12, v19, v12
	v_cmp_gt_i32_e32 vcc, 1, v13
	v_and_b32_e32 v14, 7, v5
	v_cndmask_b32_e32 v12, v17, v12, vcc
	v_cmp_lt_i32_e32 vcc, 5, v14
	v_cmp_eq_u32_e64 s[0:1], 3, v14
	v_lshrrev_b32_e32 v5, 2, v5
	v_and_b32_e32 v15, 7, v12
	s_or_b64 vcc, s[0:1], vcc
	v_cmp_lt_i32_e64 s[2:3], 5, v15
	v_cmp_eq_u32_e64 s[4:5], 3, v15
	v_addc_co_u32_e32 v5, vcc, 0, v5, vcc
	v_lshrrev_b32_e32 v12, 2, v12
	s_or_b64 vcc, s[4:5], s[2:3]
	v_addc_co_u32_e32 v12, vcc, 0, v12, vcc
	v_cmp_gt_i32_e32 vcc, 31, v11
	v_cndmask_b32_e32 v5, v0, v5, vcc
	v_cmp_gt_i32_e32 vcc, 31, v13
	v_lshl_or_b32 v1, v1, 9, v0
	v_cndmask_b32_e32 v12, v0, v12, vcc
	v_cmp_eq_u32_e32 vcc, s18, v11
	v_lshrrev_b32_e32 v6, 16, v6
	v_lshl_or_b32 v9, v9, 9, v0
	v_cndmask_b32_e32 v1, v5, v1, vcc
	v_cmp_eq_u32_e32 vcc, s18, v13
	v_lshrrev_b32_e32 v10, 16, v10
	v_cndmask_b32_e32 v5, v12, v9, vcc
	v_and_or_b32 v1, v6, s17, v1
	v_and_or_b32 v5, v10, s17, v5
	v_and_b32_e32 v1, 0xffff, v1
	v_lshl_or_b32 v1, v5, 16, v1
	global_store_dword v[3:4], v1, off
	global_load_dword v1, v[7:8], off offset:384
	v_lshrrev_b32_e32 v5, 16, v2
	v_mov_b32_e32 v7, s9
	s_waitcnt vmcnt(0)
	v_mul_f16_sdwa v6, v5, v1 dst_sel:DWORD dst_unused:UNUSED_PAD src0_sel:DWORD src1_sel:WORD_1
	v_fma_f16 v6, v2, v1, v6
	v_mul_f16_sdwa v2, v2, v1 dst_sel:DWORD dst_unused:UNUSED_PAD src0_sel:DWORD src1_sel:WORD_1
	v_cvt_f32_f16_e32 v6, v6
	v_fma_f16 v1, v1, v5, -v2
	v_cvt_f32_f16_e32 v5, v1
	v_cvt_f64_f32_e32 v[1:2], v6
	v_cvt_f64_f32_e32 v[5:6], v5
	v_mul_f64 v[1:2], v[1:2], s[14:15]
	v_mul_f64 v[5:6], v[5:6], s[14:15]
	v_and_or_b32 v1, v2, s16, v1
	v_cmp_ne_u32_e32 vcc, 0, v1
	v_and_or_b32 v5, v6, s16, v5
	v_lshrrev_b32_e32 v8, 8, v2
	v_bfe_u32 v9, v2, 20, 11
	v_cndmask_b32_e64 v1, 0, 1, vcc
	v_cmp_ne_u32_e32 vcc, 0, v5
	v_lshrrev_b32_e32 v10, 8, v6
	v_bfe_u32 v11, v6, 20, 11
	v_sub_u32_e32 v12, 0x3f1, v9
	v_cndmask_b32_e64 v5, 0, 1, vcc
	v_and_or_b32 v1, v8, s10, v1
	v_sub_u32_e32 v13, 0x3f1, v11
	v_med3_i32 v8, v12, 0, 13
	v_and_or_b32 v5, v10, s10, v5
	v_or_b32_e32 v12, 0x1000, v1
	v_add_u32_e32 v9, 0xfffffc10, v9
	v_med3_i32 v10, v13, 0, 13
	v_cmp_ne_u32_e32 vcc, 0, v1
	v_or_b32_e32 v14, 0x1000, v5
	v_lshrrev_b32_e32 v16, v8, v12
	v_add_u32_e32 v11, 0xfffffc10, v11
	v_lshl_or_b32 v13, v9, 12, v1
	v_cndmask_b32_e64 v1, 0, 1, vcc
	v_cmp_ne_u32_e32 vcc, 0, v5
	v_lshrrev_b32_e32 v17, v10, v14
	v_lshlrev_b32_e32 v8, v8, v16
	v_lshl_or_b32 v15, v11, 12, v5
	v_cndmask_b32_e64 v5, 0, 1, vcc
	v_lshlrev_b32_e32 v10, v10, v17
	v_cmp_ne_u32_e32 vcc, v8, v12
	v_cndmask_b32_e64 v8, 0, 1, vcc
	v_cmp_ne_u32_e32 vcc, v10, v14
	v_cndmask_b32_e64 v10, 0, 1, vcc
	v_or_b32_e32 v8, v16, v8
	v_cmp_gt_i32_e32 vcc, 1, v9
	v_cndmask_b32_e32 v8, v13, v8, vcc
	v_or_b32_e32 v10, v17, v10
	v_cmp_gt_i32_e32 vcc, 1, v11
	v_and_b32_e32 v12, 7, v8
	v_cndmask_b32_e32 v10, v15, v10, vcc
	v_cmp_lt_i32_e32 vcc, 5, v12
	v_cmp_eq_u32_e64 s[0:1], 3, v12
	v_lshrrev_b32_e32 v8, 2, v8
	v_and_b32_e32 v13, 7, v10
	s_or_b64 vcc, s[0:1], vcc
	v_cmp_lt_i32_e64 s[2:3], 5, v13
	v_cmp_eq_u32_e64 s[4:5], 3, v13
	v_addc_co_u32_e32 v8, vcc, 0, v8, vcc
	v_lshrrev_b32_e32 v10, 2, v10
	s_or_b64 vcc, s[4:5], s[2:3]
	v_addc_co_u32_e32 v10, vcc, 0, v10, vcc
	v_cmp_gt_i32_e32 vcc, 31, v9
	v_cndmask_b32_e32 v8, v0, v8, vcc
	v_cmp_gt_i32_e32 vcc, 31, v11
	v_lshl_or_b32 v1, v1, 9, v0
	v_lshl_or_b32 v5, v5, 9, v0
	v_cndmask_b32_e32 v0, v0, v10, vcc
	v_cmp_eq_u32_e32 vcc, s18, v9
	v_lshrrev_b32_e32 v2, 16, v2
	v_cndmask_b32_e32 v1, v8, v1, vcc
	v_cmp_eq_u32_e32 vcc, s18, v11
	v_lshrrev_b32_e32 v6, 16, v6
	v_cndmask_b32_e32 v0, v0, v5, vcc
	v_and_or_b32 v1, v2, s17, v1
	v_and_or_b32 v0, v6, s17, v0
	v_and_b32_e32 v1, 0xffff, v1
	v_lshl_or_b32 v2, v0, 16, v1
	v_add_co_u32_e32 v0, vcc, s8, v3
	v_addc_co_u32_e32 v1, vcc, v4, v7, vcc
	global_store_dword v[0:1], v2, off
.LBB0_23:
	s_endpgm
	.section	.rodata,"a",@progbits
	.p2align	6, 0x0
	.amdhsa_kernel bluestein_single_fwd_len1190_dim1_half_op_CI_CI
		.amdhsa_group_segment_fixed_size 14280
		.amdhsa_private_segment_fixed_size 0
		.amdhsa_kernarg_size 104
		.amdhsa_user_sgpr_count 6
		.amdhsa_user_sgpr_private_segment_buffer 1
		.amdhsa_user_sgpr_dispatch_ptr 0
		.amdhsa_user_sgpr_queue_ptr 0
		.amdhsa_user_sgpr_kernarg_segment_ptr 1
		.amdhsa_user_sgpr_dispatch_id 0
		.amdhsa_user_sgpr_flat_scratch_init 0
		.amdhsa_user_sgpr_private_segment_size 0
		.amdhsa_uses_dynamic_stack 0
		.amdhsa_system_sgpr_private_segment_wavefront_offset 0
		.amdhsa_system_sgpr_workgroup_id_x 1
		.amdhsa_system_sgpr_workgroup_id_y 0
		.amdhsa_system_sgpr_workgroup_id_z 0
		.amdhsa_system_sgpr_workgroup_info 0
		.amdhsa_system_vgpr_workitem_id 0
		.amdhsa_next_free_vgpr 240
		.amdhsa_next_free_sgpr 46
		.amdhsa_reserve_vcc 1
		.amdhsa_reserve_flat_scratch 0
		.amdhsa_float_round_mode_32 0
		.amdhsa_float_round_mode_16_64 0
		.amdhsa_float_denorm_mode_32 3
		.amdhsa_float_denorm_mode_16_64 3
		.amdhsa_dx10_clamp 1
		.amdhsa_ieee_mode 1
		.amdhsa_fp16_overflow 0
		.amdhsa_exception_fp_ieee_invalid_op 0
		.amdhsa_exception_fp_denorm_src 0
		.amdhsa_exception_fp_ieee_div_zero 0
		.amdhsa_exception_fp_ieee_overflow 0
		.amdhsa_exception_fp_ieee_underflow 0
		.amdhsa_exception_fp_ieee_inexact 0
		.amdhsa_exception_int_div_zero 0
	.end_amdhsa_kernel
	.text
.Lfunc_end0:
	.size	bluestein_single_fwd_len1190_dim1_half_op_CI_CI, .Lfunc_end0-bluestein_single_fwd_len1190_dim1_half_op_CI_CI
                                        ; -- End function
	.section	.AMDGPU.csdata,"",@progbits
; Kernel info:
; codeLenInByte = 31008
; NumSgprs: 50
; NumVgprs: 240
; ScratchSize: 0
; MemoryBound: 0
; FloatMode: 240
; IeeeMode: 1
; LDSByteSize: 14280 bytes/workgroup (compile time only)
; SGPRBlocks: 6
; VGPRBlocks: 59
; NumSGPRsForWavesPerEU: 50
; NumVGPRsForWavesPerEU: 240
; Occupancy: 1
; WaveLimiterHint : 1
; COMPUTE_PGM_RSRC2:SCRATCH_EN: 0
; COMPUTE_PGM_RSRC2:USER_SGPR: 6
; COMPUTE_PGM_RSRC2:TRAP_HANDLER: 0
; COMPUTE_PGM_RSRC2:TGID_X_EN: 1
; COMPUTE_PGM_RSRC2:TGID_Y_EN: 0
; COMPUTE_PGM_RSRC2:TGID_Z_EN: 0
; COMPUTE_PGM_RSRC2:TIDIG_COMP_CNT: 0
	.type	__hip_cuid_d55e8955028e2acb,@object ; @__hip_cuid_d55e8955028e2acb
	.section	.bss,"aw",@nobits
	.globl	__hip_cuid_d55e8955028e2acb
__hip_cuid_d55e8955028e2acb:
	.byte	0                               ; 0x0
	.size	__hip_cuid_d55e8955028e2acb, 1

	.ident	"AMD clang version 19.0.0git (https://github.com/RadeonOpenCompute/llvm-project roc-6.4.0 25133 c7fe45cf4b819c5991fe208aaa96edf142730f1d)"
	.section	".note.GNU-stack","",@progbits
	.addrsig
	.addrsig_sym __hip_cuid_d55e8955028e2acb
	.amdgpu_metadata
---
amdhsa.kernels:
  - .args:
      - .actual_access:  read_only
        .address_space:  global
        .offset:         0
        .size:           8
        .value_kind:     global_buffer
      - .actual_access:  read_only
        .address_space:  global
        .offset:         8
        .size:           8
        .value_kind:     global_buffer
      - .actual_access:  read_only
        .address_space:  global
        .offset:         16
        .size:           8
        .value_kind:     global_buffer
      - .actual_access:  read_only
        .address_space:  global
        .offset:         24
        .size:           8
        .value_kind:     global_buffer
      - .actual_access:  read_only
        .address_space:  global
        .offset:         32
        .size:           8
        .value_kind:     global_buffer
      - .offset:         40
        .size:           8
        .value_kind:     by_value
      - .address_space:  global
        .offset:         48
        .size:           8
        .value_kind:     global_buffer
      - .address_space:  global
        .offset:         56
        .size:           8
        .value_kind:     global_buffer
      - .address_space:  global
        .offset:         64
        .size:           8
        .value_kind:     global_buffer
      - .address_space:  global
        .offset:         72
        .size:           8
        .value_kind:     global_buffer
      - .offset:         80
        .size:           4
        .value_kind:     by_value
      - .address_space:  global
        .offset:         88
        .size:           8
        .value_kind:     global_buffer
      - .address_space:  global
        .offset:         96
        .size:           8
        .value_kind:     global_buffer
    .group_segment_fixed_size: 14280
    .kernarg_segment_align: 8
    .kernarg_segment_size: 104
    .language:       OpenCL C
    .language_version:
      - 2
      - 0
    .max_flat_workgroup_size: 255
    .name:           bluestein_single_fwd_len1190_dim1_half_op_CI_CI
    .private_segment_fixed_size: 0
    .sgpr_count:     50
    .sgpr_spill_count: 0
    .symbol:         bluestein_single_fwd_len1190_dim1_half_op_CI_CI.kd
    .uniform_work_group_size: 1
    .uses_dynamic_stack: false
    .vgpr_count:     240
    .vgpr_spill_count: 0
    .wavefront_size: 64
amdhsa.target:   amdgcn-amd-amdhsa--gfx906
amdhsa.version:
  - 1
  - 2
...

	.end_amdgpu_metadata
